;; amdgpu-corpus repo=ROCm/aiter kind=harvested arch=n/a opt=n/a

/root/src/amdgpu-assembly/repos/ROCm__aiter/hsa/gfx950/fmha_v3_bwd/bwd_hd192_128_bf16_causal_br_a16_pssk.co:	file format elf64-amdgpu

Disassembly of section .text:

0000000000004000 <_ZN5aiter42fmha_bwd_hd192_128_bf16_causal_br_a16_psskE>:
	s_and_b32 s1, s1, 0xffff                                   // 000000004000: 8601FF01 0000FFFF
	s_load_dwordx2 s[32:33], s[0:1], 0x0                       // 000000004008: C0060800 00000000
	s_load_dwordx2 s[36:37], s[0:1], 0x10                      // 000000004010: C0060900 00000010
	s_load_dwordx2 s[40:41], s[0:1], 0x20                      // 000000004018: C0060A00 00000020
	s_load_dwordx2 s[8:9], s[0:1], 0x30                        // 000000004020: C0060200 00000030
	s_load_dwordx2 s[12:13], s[0:1], 0x40                      // 000000004028: C0060300 00000040
	s_load_dwordx2 s[16:17], s[0:1], 0x50                      // 000000004030: C0060400 00000050
	s_load_dwordx2 s[20:21], s[0:1], 0x60                      // 000000004038: C0060500 00000060
	s_load_dwordx2 s[24:25], s[0:1], 0x70                      // 000000004040: C0060600 00000070
	s_load_dwordx2 s[28:29], s[0:1], 0x80                      // 000000004048: C0060700 00000080
	s_load_dword s47, s[0:1], 0x90                             // 000000004050: C0020BC0 00000090
	s_load_dword s48, s[0:1], 0xa0                             // 000000004058: C0020C00 000000A0
	s_load_dword s49, s[0:1], 0xb0                             // 000000004060: C0020C40 000000B0
	s_load_dword s78, s[0:1], 0xd0                             // 000000004068: C0021380 000000D0
	s_load_dword s79, s[0:1], 0xe0                             // 000000004070: C00213C0 000000E0
	s_load_dword s5, s[0:1], 0xf0                              // 000000004078: C0020140 000000F0
	s_load_dword s44, s[0:1], 0x100                            // 000000004080: C0020B00 00000100
	s_load_dword s80, s[0:1], 0x110                            // 000000004088: C0021400 00000110
	s_load_dword s81, s[0:1], 0x120                            // 000000004090: C0021440 00000120
	s_load_dword s6, s[0:1], 0x130                             // 000000004098: C0020180 00000130
	s_load_dword s52, s[0:1], 0x140                            // 0000000040A0: C0020D00 00000140
	s_load_dword s50, s[0:1], 0x150                            // 0000000040A8: C0020C80 00000150
	s_load_dword s63, s[0:1], 0x160                            // 0000000040B0: C0020FC0 00000160
	s_load_dword s64, s[0:1], 0x180                            // 0000000040B8: C0021000 00000180
	s_load_dword s82, s[0:1], 0x190                            // 0000000040C0: C0021480 00000190
	s_load_dword s83, s[0:1], 0x1a0                            // 0000000040C8: C00214C0 000001A0
	s_load_dword s7, s[0:1], 0x1b0                             // 0000000040D0: C00201C0 000001B0
	s_load_dword s84, s[0:1], 0x1c0                            // 0000000040D8: C0021500 000001C0
	s_load_dword s85, s[0:1], 0x1d0                            // 0000000040E0: C0021540 000001D0
	s_load_dword s51, s[0:1], 0x1e0                            // 0000000040E8: C0020CC0 000001E0
	s_load_dword s86, s[0:1], 0x1f0                            // 0000000040F0: C0021580 000001F0
	s_load_dword s87, s[0:1], 0x200                            // 0000000040F8: C00215C0 00000200
	s_load_dword s88, s[0:1], 0x210                            // 000000004100: C0021600 00000210
	s_load_dword s89, s[0:1], 0x220                            // 000000004108: C0021640 00000220
	s_load_dword s53, s[0:1], 0x230                            // 000000004110: C0020D40 00000230
	v_lshrrev_b32_e32 v1, 10, v0                               // 000000004118: 2002008A
	v_lshrrev_b32_e32 v2, 10, v1                               // 00000000411C: 2004028A
	v_and_b32_e32 v2, 0x3ff, v2                                // 000000004120: 260404FF 000003FF
	v_and_b32_e32 v1, 0x3ff, v1                                // 000000004128: 260202FF 000003FF
	v_and_b32_e32 v0, 0x3ff, v0                                // 000000004130: 260000FF 000003FF
	v_lshrrev_b32_e32 v3, 6, v0                                // 000000004138: 20060086
	v_and_b32_e32 v0, 63, v0                                   // 00000000413C: 260000BF
	s_mov_b32 s2, s2                                           // 000000004140: BE820002
	s_mov_b32 s3, s3                                           // 000000004144: BE830003
	s_mov_b32 s4, s4                                           // 000000004148: BE840004
	v_readfirstlane_b32 s46, v3                                // 00000000414C: 7E5C0503
	s_waitcnt lgkmcnt(0)                                       // 000000004150: BF8CC07F
	s_mov_b32 s11, 0x20000                                     // 000000004154: BE8B00FF 00020000
	s_mov_b32 s15, 0x20000                                     // 00000000415C: BE8F00FF 00020000
	s_mov_b32 s19, 0x20000                                     // 000000004164: BE9300FF 00020000
	s_mov_b32 s23, 0x20000                                     // 00000000416C: BE9700FF 00020000
	s_mov_b32 s27, 0x20000                                     // 000000004174: BE9B00FF 00020000
	s_mov_b32 s31, 0x20000                                     // 00000000417C: BE9F00FF 00020000
	s_mov_b32 s35, 0x20000                                     // 000000004184: BEA300FF 00020000
	s_mov_b32 s39, 0x20000                                     // 00000000418C: BEA700FF 00020000
	s_mov_b32 s43, 0x20000                                     // 000000004194: BEAB00FF 00020000
	s_and_b32 s9, s9, 0xffff                                   // 00000000419C: 8609FF09 0000FFFF
	s_and_b32 s13, s13, 0xffff                                 // 0000000041A4: 860DFF0D 0000FFFF
	s_and_b32 s17, s17, 0xffff                                 // 0000000041AC: 8611FF11 0000FFFF
	s_and_b32 s21, s21, 0xffff                                 // 0000000041B4: 8615FF15 0000FFFF
	s_and_b32 s25, s25, 0xffff                                 // 0000000041BC: 8619FF19 0000FFFF
	s_and_b32 s29, s29, 0xffff                                 // 0000000041C4: 861DFF1D 0000FFFF
	s_and_b32 s33, s33, 0xffff                                 // 0000000041CC: 8621FF21 0000FFFF
	s_and_b32 s37, s37, 0xffff                                 // 0000000041D4: 8625FF25 0000FFFF
	s_and_b32 s41, s41, 0xffff                                 // 0000000041DC: 8629FF29 0000FFFF
	s_or_b32 s9, s9, 0x40000                                   // 0000000041E4: 8709FF09 00040000
	s_or_b32 s13, s13, 0x40000                                 // 0000000041EC: 870DFF0D 00040000
	s_or_b32 s17, s17, 0x40000                                 // 0000000041F4: 8711FF11 00040000
	s_or_b32 s21, s21, 0x40000                                 // 0000000041FC: 8715FF15 00040000
	s_or_b32 s25, s25, 0x40000                                 // 000000004204: 8719FF19 00040000
	s_or_b32 s29, s29, 0x40000                                 // 00000000420C: 871DFF1D 00040000
	s_or_b32 s33, s33, 0x40000                                 // 000000004214: 8721FF21 00040000
	s_or_b32 s37, s37, 0x40000                                 // 00000000421C: 8725FF25 00040000
	s_or_b32 s41, s41, 0x40000                                 // 000000004224: 8729FF29 00040000
	v_accvgpr_write_b32 a255, 0                                // 00000000422C: D3D940FF 18000080
	v_mov_b32_e32 v255, 0                                      // 000000004234: 7FFE0280
	s_mov_b32 s71, s3                                          // 000000004238: BEC70003
	v_cvt_f32_u32_e32 v32, s44                                 // 00000000423C: 7E400C2C
	s_sub_i32 s60, 0, s44                                      // 000000004240: 81BC2C80
	v_rcp_iflag_f32_e32 v32, v32                               // 000000004244: 7E404720
	s_nop 0                                                    // 000000004248: BF800000
	v_mul_f32_e32 v32, 0x4f7ffffe, v32                         // 00000000424C: 0A4040FF 4F7FFFFE
	v_cvt_u32_f32_e32 v32, v32                                 // 000000004254: 7E400F20
	v_mul_lo_u32 v33, s60, v32                                 // 000000004258: D2850021 0002403C
	v_mul_hi_u32 v33, v32, v33                                 // 000000004260: D2860021 00024320
	v_add_u32_e32 v32, v32, v33                                // 000000004268: 68404320
	v_mul_hi_u32 v32, s71, v32                                 // 00000000426C: D2860020 00024047
	v_mul_lo_u32 v33, v32, s44                                 // 000000004274: D2850021 00005920
	v_sub_u32_e32 v35, s71, v33                                // 00000000427C: 6A464247
	v_add_u32_e32 v34, 1, v32                                  // 000000004280: 68444081
	v_cmp_le_u32_e32 vcc, s44, v35                             // 000000004284: 7D96462C
	v_subrev_u32_e32 v33, s44, v35                             // 000000004288: 6C42462C
	s_nop 0                                                    // 00000000428C: BF800000
	v_cndmask_b32_e32 v32, v32, v34, vcc                       // 000000004290: 00404520
	v_cndmask_b32_e32 v35, v35, v33, vcc                       // 000000004294: 00464323
	v_add_u32_e32 v33, 1, v32                                  // 000000004298: 68424081
	v_cmp_le_u32_e32 vcc, s44, v35                             // 00000000429C: 7D96462C
	s_nop 1                                                    // 0000000042A0: BF800001
	v_cndmask_b32_e32 v35, v32, v33, vcc                       // 0000000042A4: 00464320
	s_nop 3                                                    // 0000000042A8: BF800003
	v_readfirstlane_b32 s45, v35                               // 0000000042AC: 7E5A0523
	s_nop 3                                                    // 0000000042B0: BF800003
	s_mul_i32 s61, s45, s80                                    // 0000000042B4: 923D502D
	s_mov_b32 s54, s61                                         // 0000000042B8: BEB6003D
	s_add_u32 s12, s54, s12                                    // 0000000042BC: 800C0C36
	s_addc_u32 s13, 0, s13                                     // 0000000042C0: 820D0D80
	s_mul_i32 s60, s4, s81                                     // 0000000042C4: 923C5104
	s_mul_hi_u32 s61, s4, s81                                  // 0000000042C8: 963D5104
	s_and_b32 s61, s61, 0xffff                                 // 0000000042CC: 863DFF3D 0000FFFF
	s_add_u32 s12, s12, s60                                    // 0000000042D4: 800C3C0C
	s_addc_u32 s13, s13, s61                                   // 0000000042D8: 820D3D0D
	s_mul_i32 s61, s45, s82                                    // 0000000042DC: 923D522D
	s_mov_b32 s54, s61                                         // 0000000042E0: BEB6003D
	s_add_u32 s16, s54, s16                                    // 0000000042E4: 80101036
	s_addc_u32 s17, 0, s17                                     // 0000000042E8: 82111180
	s_mul_i32 s60, s4, s83                                     // 0000000042EC: 923C5304
	s_mul_hi_u32 s61, s4, s83                                  // 0000000042F0: 963D5304
	s_and_b32 s61, s61, 0xffff                                 // 0000000042F4: 863DFF3D 0000FFFF
	s_add_u32 s16, s16, s60                                    // 0000000042FC: 80103C10
	s_addc_u32 s17, s17, s61                                   // 000000004300: 82113D11
	s_mul_i32 s61, s3, s78                                     // 000000004304: 923D4E03
	s_mul_i32 s62, s4, s79                                     // 000000004308: 923E4F04
	s_mov_b32 s55, s61                                         // 00000000430C: BEB7003D
	s_add_u32 s8, s55, s8                                      // 000000004310: 80080837
	s_addc_u32 s9, 0, s9                                       // 000000004314: 82090980
	s_mul_i32 s60, s5, s49                                     // 000000004318: 923C3105
	s_sub_i32 s61, s60, s61                                    // 00000000431C: 81BD3D3C
	s_cmp_ge_i32 s5, s78                                       // 000000004320: BF034E05
	s_cselect_b32 s60, s61, s60                                // 000000004324: 853C3C3D
	s_sub_i32 s61, s60, s62                                    // 000000004328: 81BD3E3C
	s_cmp_ge_i32 s5, s79                                       // 00000000432C: BF034F05
	s_cselect_b32 s60, s61, s60                                // 000000004330: 853C3C3D
	s_lshr_b32 s60, s60, 2                                     // 000000004334: 8F3C823C
	s_mov_b32 s10, s60                                         // 000000004338: BE8A003C
	s_mul_i32 s60, s4, s79                                     // 00000000433C: 923C4F04
	s_mul_hi_u32 s61, s4, s79                                  // 000000004340: 963D4F04
	s_and_b32 s61, s61, 0xffff                                 // 000000004344: 863DFF3D 0000FFFF
	s_add_u32 s8, s8, s60                                      // 00000000434C: 80083C08
	s_addc_u32 s9, s9, s61                                     // 000000004350: 82093D09
	s_mul_i32 s61, s3, s84                                     // 000000004354: 923D5403
	s_mul_i32 s62, s4, s85                                     // 000000004358: 923E5504
	s_mov_b32 s56, s61                                         // 00000000435C: BEB8003D
	s_add_u32 s20, s56, s20                                    // 000000004360: 80141438
	s_addc_u32 s21, 0, s21                                     // 000000004364: 82151580
	s_mul_i32 s60, s51, s49                                    // 000000004368: 923C3133
	s_sub_i32 s61, s60, s61                                    // 00000000436C: 81BD3D3C
	s_cmp_ge_i32 s51, s84                                      // 000000004370: BF035433
	s_cselect_b32 s60, s61, s60                                // 000000004374: 853C3C3D
	s_sub_i32 s61, s60, s62                                    // 000000004378: 81BD3E3C
	s_cmp_ge_i32 s51, s85                                      // 00000000437C: BF035533
	s_cselect_b32 s60, s61, s60                                // 000000004380: 853C3C3D
	s_lshr_b32 s60, s60, 2                                     // 000000004384: 8F3C823C
	s_mov_b32 s22, s60                                         // 000000004388: BE96003C
	s_mul_i32 s60, s4, s85                                     // 00000000438C: 923C5504
	s_mul_hi_u32 s61, s4, s85                                  // 000000004390: 963D5504
	s_and_b32 s61, s61, 0xffff                                 // 000000004394: 863DFF3D 0000FFFF
	s_add_u32 s20, s20, s60                                    // 00000000439C: 80143C14
	s_addc_u32 s21, s21, s61                                   // 0000000043A0: 82153D15
	s_mul_i32 s62, s64, s49                                    // 0000000043A4: 923E3140
	s_lshl_b32 s62, s62, 2                                     // 0000000043A8: 8E3E823E
	s_mul_i32 s61, s3, s49                                     // 0000000043AC: 923D3103
	s_mul_i32 s61, 4, s61                                      // 0000000043B0: 923D3D84
	s_mov_b32 s65, s61                                         // 0000000043B4: BEC1003D
	s_mov_b32 s26, s49                                         // 0000000043B8: BE9A0031
	s_mov_b32 s30, s49                                         // 0000000043BC: BE9E0031
	s_add_u32 s24, s65, s24                                    // 0000000043C0: 80181841
	s_addc_u32 s25, 0, s25                                     // 0000000043C4: 82191980
	s_add_u32 s28, s65, s28                                    // 0000000043C8: 801C1C41
	s_addc_u32 s29, 0, s29                                     // 0000000043CC: 821D1D80
	s_mul_i32 s60, s4, s62                                     // 0000000043D0: 923C3E04
	s_mul_hi_u32 s61, s4, s62                                  // 0000000043D4: 963D3E04
	s_and_b32 s61, s61, 0xffff                                 // 0000000043D8: 863DFF3D 0000FFFF
	s_add_u32 s24, s24, s60                                    // 0000000043E0: 80183C18
	s_addc_u32 s25, s25, s61                                   // 0000000043E4: 82193D19
	s_add_u32 s28, s28, s60                                    // 0000000043E8: 801C3C1C
	s_addc_u32 s29, s29, s61                                   // 0000000043EC: 821D3D1D
	s_mul_i32 s61, s3, s86                                     // 0000000043F0: 923D5603
	s_add_u32 s36, s61, s36                                    // 0000000043F4: 8024243D
	s_addc_u32 s37, 0, s37                                     // 0000000043F8: 82252580
	s_mul_i32 s60, s50, s52                                    // 0000000043FC: 923C3432
	s_mov_b32 s38, s60                                         // 000000004400: BEA6003C
	s_mul_i32 s60, s4, s87                                     // 000000004404: 923C5704
	s_mul_hi_u32 s61, s4, s87                                  // 000000004408: 963D5704
	s_and_b32 s61, s61, 0xffff                                 // 00000000440C: 863DFF3D 0000FFFF
	s_add_u32 s36, s36, s60                                    // 000000004414: 80243C24
	s_addc_u32 s37, s37, s61                                   // 000000004418: 82253D25
	s_mul_i32 s61, s3, s88                                     // 00000000441C: 923D5803
	s_add_u32 s40, s61, s40                                    // 000000004420: 8028283D
	s_addc_u32 s41, 0, s41                                     // 000000004424: 82292980
	s_mul_i32 s60, s50, s53                                    // 000000004428: 923C3532
	s_mov_b32 s42, s60                                         // 00000000442C: BEAA003C
	s_mul_i32 s60, s4, s89                                     // 000000004430: 923C5904
	s_mul_hi_u32 s61, s4, s89                                  // 000000004434: 963D5904
	s_and_b32 s61, s61, 0xffff                                 // 000000004438: 863DFF3D 0000FFFF
	s_add_u32 s40, s40, s60                                    // 000000004440: 80283C28
	s_addc_u32 s41, s41, s61                                   // 000000004444: 82293D29
	s_add_u32 s60, s49, 15                                     // 000000004448: 803C8F31
	s_lshr_b32 s60, s60, 4                                     // 00000000444C: 8F3C843C
	s_lshl_b32 s60, s60, 4                                     // 000000004450: 8E3C843C
	s_mul_i32 s61, s60, 0x180                                  // 000000004454: 923DFF3C 00000180
	s_mul_i32 s62, s61, s64                                    // 00000000445C: 923E403D
	s_mul_i32 s61, s3, s61                                     // 000000004460: 923D3D03
	s_add_u32 s32, s61, s32                                    // 000000004464: 8020203D
	s_addc_u32 s33, 0, s33                                     // 000000004468: 82212180
	s_mul_i32 s60, 0x180, s60                                  // 00000000446C: 923C3CFF 00000180
	s_mov_b32 s34, s60                                         // 000000004474: BEA2003C
	s_mul_i32 s60, s4, s62                                     // 000000004478: 923C3E04
	s_mul_hi_u32 s61, s4, s62                                  // 00000000447C: 963D3E04
	s_and_b32 s61, s61, 0xffff                                 // 000000004480: 863DFF3D 0000FFFF
	s_add_u32 s32, s32, s60                                    // 000000004488: 80203C20
	s_addc_u32 s33, s33, s61                                   // 00000000448C: 82213D21
	s_mov_b32 s92, s8                                          // 000000004490: BEDC0008
	s_mov_b32 s94, s12                                         // 000000004494: BEDE000C
	s_mov_b32 s96, s16                                         // 000000004498: BEE00010
	s_mov_b32 s90, s20                                         // 00000000449C: BEDA0014
	s_mov_b32 s93, s9                                          // 0000000044A0: BEDD0009
	s_mov_b32 s95, s13                                         // 0000000044A4: BEDF000D
	s_mov_b32 s97, s17                                         // 0000000044A8: BEE10011
	s_mov_b32 s91, s21                                         // 0000000044AC: BEDB0015
	s_add_u32 s71, 0xbf, s50                                   // 0000000044B0: 804732FF 000000BF
	s_mov_b32 s74, 0xc0                                        // 0000000044B8: BECA00FF 000000C0
	v_cvt_f32_u32_e32 v32, s74                                 // 0000000044C0: 7E400C4A
	s_sub_i32 s60, 0, s74                                      // 0000000044C4: 81BC4A80
	v_rcp_iflag_f32_e32 v32, v32                               // 0000000044C8: 7E404720
	s_nop 0                                                    // 0000000044CC: BF800000
	v_mul_f32_e32 v32, 0x4f7ffffe, v32                         // 0000000044D0: 0A4040FF 4F7FFFFE
	v_cvt_u32_f32_e32 v32, v32                                 // 0000000044D8: 7E400F20
	v_mul_lo_u32 v33, s60, v32                                 // 0000000044DC: D2850021 0002403C
	v_mul_hi_u32 v33, v32, v33                                 // 0000000044E4: D2860021 00024320
	v_add_u32_e32 v32, v32, v33                                // 0000000044EC: 68404320
	v_mul_hi_u32 v32, s71, v32                                 // 0000000044F0: D2860020 00024047
	v_mul_lo_u32 v33, v32, s74                                 // 0000000044F8: D2850021 00009520
	v_sub_u32_e32 v35, s71, v33                                // 000000004500: 6A464247
	v_add_u32_e32 v34, 1, v32                                  // 000000004504: 68444081
	v_cmp_le_u32_e32 vcc, s74, v35                             // 000000004508: 7D96464A
	v_subrev_u32_e32 v33, s74, v35                             // 00000000450C: 6C42464A
	s_nop 0                                                    // 000000004510: BF800000
	v_cndmask_b32_e32 v32, v32, v34, vcc                       // 000000004514: 00404520
	v_cndmask_b32_e32 v35, v35, v33, vcc                       // 000000004518: 00464323
	v_add_u32_e32 v33, 1, v32                                  // 00000000451C: 68424081
	v_cmp_le_u32_e32 vcc, s74, v35                             // 000000004520: 7D96464A
	s_nop 1                                                    // 000000004524: BF800001
	v_cndmask_b32_e32 v35, v32, v33, vcc                       // 000000004528: 00464320
	s_nop 3                                                    // 00000000452C: BF800003
	v_readfirstlane_b32 s77, v35                               // 000000004530: 7E9A0523
	s_nop 3                                                    // 000000004534: BF800003
	v_mov_b32_e32 v32, s47                                     // 000000004538: 7E40022F
	v_mul_f32_e32 v32, s48, v32                                // 00000000453C: 0A404030
	s_mov_b32 s58, s49                                         // 000000004540: BEBA0031
	s_mov_b32 s59, 0                                           // 000000004544: BEBB0080
	v_readfirstlane_b32 s57, v32                               // 000000004548: 7E720520
	s_mov_b32 s67, 0x1800                                      // 00000000454C: BEC300FF 00001800
	s_cmp_lt_u32 s46, 2                                        // 000000004554: BF0A822E
	s_cselect_b32 s24, s24, s28                                // 000000004558: 85181C18
	s_cselect_b32 s25, s25, s29                                // 00000000455C: 85191D19
	s_cselect_b32 s26, s26, s30                                // 000000004560: 851A1E1A
	s_cselect_b32 s27, s27, s31                                // 000000004564: 851B1F1B
	s_mov_b32 s75, 0                                           // 000000004568: BECB0080
	s_mov_b32 s76, 1                                           // 00000000456C: BECC0081
	s_lshl_b32 s60, s2, 1                                      // 000000004570: 8E3C8102
	s_add_u32 s60, 1, s60                                      // 000000004574: 803C3C81
	s_cmp_ge_i32 s60, s77                                      // 000000004578: BF034D3C
	s_cselect_b32 s76, s76, 2                                  // 00000000457C: 854C824C

0000000000004580 <label_0160>:
	s_mov_b32 s66, 0                                           // 000000004580: BEC20080
	v_mov_b32_e32 v127, 0xff800000                             // 000000004584: 7EFE02FF FF800000
	s_mov_b32 s74, 0                                           // 00000000458C: BECA0080
	s_mul_i32 s68, 4, s5                                       // 000000004590: 92440584
	s_mul_i32 s98, 4, s51                                      // 000000004594: 92623384
	s_mov_b32 s69, 16                                          // 000000004598: BEC50090
	s_mul_i32 s74, 0xc0, s2                                    // 00000000459C: 924A02FF 000000C0
	s_sub_i32 s60, s50, s49                                    // 0000000045A4: 81BC3132
	s_sub_i32 s71, s74, s60                                    // 0000000045A8: 81C73C4A
	s_cmp_ge_i32 s71, 0                                        // 0000000045AC: BF038047
	s_cselect_b32 s59, s71, 0                                  // 0000000045B0: 853B8047
	s_lshr_b32 s59, s59, 4                                     // 0000000045B4: 8F3B843B
	s_lshl_b32 s59, s59, 4                                     // 0000000045B8: 8E3B843B
	s_add_i32 s60, s71, 0xc0                                   // 0000000045BC: 813CFF47 000000C0
	s_cmp_le_i32 s60, 0                                        // 0000000045C4: BF05803C
	s_cbranch_scc0 label_0175                                  // 0000000045C8: BF840002
	s_mov_b32 s90, 0                                           // 0000000045CC: BEDA0080
	s_branch label_0181                                        // 0000000045D0: BF82000C

00000000000045d4 <label_0175>:
	s_mov_b32 s90, 1                                           // 0000000045D4: BEDA0081
	s_sub_i32 s60, s59, s71                                    // 0000000045D8: 81BC473B
	v_lshrrev_b32_e32 v32, 4, v0                               // 0000000045DC: 20400084
	v_mul_i32_i24_e32 v32, 4, v32                              // 0000000045E0: 0C404084
	v_add_i32 v32, v32, s60                                    // 0000000045E4: D29C0020 00007920
	v_and_b32_e32 v33, 15, v0                                  // 0000000045EC: 2642008F
	v_mul_i32_i24_e64 v34, s46, 16                             // 0000000045F0: D1060022 0001202E
	v_add_u32_e32 v33, v33, v34                                // 0000000045F8: 68424521
	v_sub_i32 v24, v33, v32                                    // 0000000045FC: D29D0018 00024121

0000000000004604 <label_0181>:
	s_mul_i32 s74, 0xc0, s2                                    // 000000004604: 924A02FF 000000C0
	s_mul_i32 s54, s6, s74                                     // 00000000460C: 92364A06
	s_sub_i32 s61, s50, s74                                    // 000000004610: 81BD4A32
	s_mul_i32 s62, s6, s61                                     // 000000004614: 923E3D06
	s_lshr_b32 s62, s62, 2                                     // 000000004618: 8F3E823E
	s_mov_b32 s14, s62                                         // 00000000461C: BE8E003E
	s_add_u32 s12, s54, s94                                    // 000000004620: 800C5E36
	s_addc_u32 s13, 0, s95                                     // 000000004624: 820D5F80
	s_mul_i32 s54, s7, s74                                     // 000000004628: 92364A07
	s_mul_i32 s62, s7, s61                                     // 00000000462C: 923E3D07
	s_lshr_b32 s62, s62, 2                                     // 000000004630: 8F3E823E
	s_mov_b32 s18, s62                                         // 000000004634: BE92003E
	s_add_u32 s16, s54, s96                                    // 000000004638: 80106036
	s_addc_u32 s17, 0, s97                                     // 00000000463C: 82116180
	s_mov_b32 s71, s6                                          // 000000004640: BEC70006
	v_and_b32_e32 v32, 3, v0                                   // 000000004644: 26400083
	v_and_b32_e32 v33, 1, v32                                  // 000000004648: 26424081
	v_lshrrev_b32_e32 v34, 1, v32                              // 00000000464C: 20444081
	v_lshrrev_b32_e32 v32, 5, v0                               // 000000004650: 20400085
	v_xor_b32_e32 v34, v34, v32                                // 000000004654: 2A444122
	v_lshlrev_b32_e32 v34, 1, v34                              // 000000004658: 24444481
	v_add_u32_e32 v33, v34, v33                                // 00000000465C: 68424322
	v_lshlrev_b32_e32 v33, 4, v33                              // 000000004660: 24424284
	v_lshrrev_b32_e32 v32, 2, v0                               // 000000004664: 20400082
	v_mul_i32_i24_e32 v32, s71, v32                            // 000000004668: 0C404047
	v_add_u32_e32 v1, v32, v33                                 // 00000000466C: 68024320
	s_mul_i32 s60, s46, 64                                     // 000000004670: 923CC02E
	v_add_u32_e32 v1, s60, v1                                  // 000000004674: 6802023C
	v_and_b32_e32 v32, 7, v0                                   // 000000004678: 26400087
	v_lshrrev_b32_e32 v33, 3, v0                               // 00000000467C: 20420083
	v_and_b32_e32 v33, 1, v33                                  // 000000004680: 26424281
	s_lshr_b32 s60, s46, 1                                     // 000000004684: 8F3C812E
	v_xor_b32_e64 v33, v33, s60                                // 000000004688: D1150021 00007921
	v_lshlrev_b32_e32 v33, 3, v33                              // 000000004690: 24424283
	v_add_u32_e32 v32, v32, v33                                // 000000004694: 68404320
	v_lshlrev_b32_e32 v32, 2, v32                              // 000000004698: 24404082
	s_mul_i32 s60, s46, 4                                      // 00000000469C: 923C842E
	v_lshrrev_b32_e32 v33, 4, v0                               // 0000000046A0: 20420084
	v_add_u32_e64 v33, v33, s60                                // 0000000046A4: D1340021 00007921
	v_mul_i32_i24_e32 v33, s71, v33                            // 0000000046AC: 0C424247
	v_add_u32_e32 v2, v32, v33                                 // 0000000046B0: 68044320
	s_mov_b32 s60, 0x100                                       // 0000000046B4: BEBC00FF 00000100
	v_add_u32_e64 v2, v2, s60                                  // 0000000046BC: D1340002 00007902
	v_add_u32_e64 v3, v2, 64                                   // 0000000046C4: D1340003 00018102
	s_mov_b32 s71, s7                                          // 0000000046CC: BEC70007
	v_and_b32_e32 v32, 3, v0                                   // 0000000046D0: 26400083
	v_and_b32_e32 v33, 1, v32                                  // 0000000046D4: 26424081
	v_lshrrev_b32_e32 v34, 1, v32                              // 0000000046D8: 20444081
	v_lshrrev_b32_e32 v32, 5, v0                               // 0000000046DC: 20400085
	v_xor_b32_e32 v34, v34, v32                                // 0000000046E0: 2A444122
	v_lshlrev_b32_e32 v34, 1, v34                              // 0000000046E4: 24444481
	v_add_u32_e32 v33, v34, v33                                // 0000000046E8: 68424322
	v_lshlrev_b32_e32 v33, 4, v33                              // 0000000046EC: 24424284
	v_lshrrev_b32_e32 v32, 2, v0                               // 0000000046F0: 20400082
	v_mul_i32_i24_e32 v32, s71, v32                            // 0000000046F4: 0C404047
	v_add_u32_e32 v4, v32, v33                                 // 0000000046F8: 68084320
	s_mul_i32 s60, s46, 64                                     // 0000000046FC: 923CC02E
	v_add_u32_e32 v4, s60, v4                                  // 000000004700: 6808083C
	v_lshrrev_b32_e32 v1, 2, v1                                // 000000004704: 20020282
	v_lshrrev_b32_e32 v2, 2, v2                                // 000000004708: 20040482
	v_lshrrev_b32_e32 v3, 2, v3                                // 00000000470C: 20060682
	v_lshrrev_b32_e32 v4, 2, v4                                // 000000004710: 20080882
	s_mov_b32 s70, s52                                         // 000000004714: BEC60034
	v_lshrrev_b32_e32 v32, 3, v0                               // 000000004718: 20400083
	v_mul_i32_i24_e32 v5, s70, v32                             // 00000000471C: 0C0A4046
	v_lshrrev_b32_e32 v5, 2, v5                                // 000000004720: 200A0A82
	v_and_b32_e32 v32, 7, v0                                   // 000000004724: 26400087
	v_lshlrev_b32_e32 v33, 2, v32                              // 000000004728: 24424082
	v_add_u32_e32 v5, v33, v5                                  // 00000000472C: 680A0B21
	s_mul_i32 s60, 16, s70                                     // 000000004730: 923C4690
	s_mul_i32 s60, s46, s60                                    // 000000004734: 923C3C2E
	v_lshlrev_b32_e32 v5, 2, v5                                // 000000004738: 240A0A82
	v_add_u32_e32 v5, s60, v5                                  // 00000000473C: 680A0A3C
	s_mul_i32 s60, s52, s74                                    // 000000004740: 923C4A34
	v_add_u32_e32 v5, s60, v5                                  // 000000004744: 680A0A3C
	s_mov_b32 s70, s53                                         // 000000004748: BEC60035
	v_lshrrev_b32_e32 v32, 3, v0                               // 00000000474C: 20400083
	v_mul_i32_i24_e32 v6, s70, v32                             // 000000004750: 0C0C4046
	v_lshrrev_b32_e32 v6, 2, v6                                // 000000004754: 200C0C82
	v_and_b32_e32 v32, 7, v0                                   // 000000004758: 26400087
	v_lshlrev_b32_e32 v33, 2, v32                              // 00000000475C: 24424082
	v_add_u32_e32 v6, v33, v6                                  // 000000004760: 680C0D21
	s_mul_i32 s60, 16, s70                                     // 000000004764: 923C4690
	s_mul_i32 s60, s46, s60                                    // 000000004768: 923C3C2E
	v_lshlrev_b32_e32 v6, 2, v6                                // 00000000476C: 240C0C82
	v_add_u32_e32 v6, s60, v6                                  // 000000004770: 680C0C3C
	s_mul_i32 s60, s53, s74                                    // 000000004774: 923C4A35
	v_add_u32_e32 v6, s60, v6                                  // 000000004778: 680C0C3C
	s_mov_b32 s74, 0                                           // 00000000477C: BECA0080
	s_cmp_ge_i32 s59, s49                                      // 000000004780: BF03313B
	s_cselect_b32 s59, s49, s59                                // 000000004784: 853B3B31
	s_add_u32 s73, 16, s59                                     // 000000004788: 80493B90
	s_mul_i32 s65, s59, 4                                      // 00000000478C: 9241843B
	v_and_b32_e32 v11, 15, v0                                  // 000000004790: 2616008F
	v_lshlrev_b32_e32 v11, 2, v11                              // 000000004794: 24161682
	v_add_u32_e32 v11, s65, v11                                // 000000004798: 68161641
	v_lshrrev_b32_e32 v11, 2, v11                              // 00000000479C: 20161682
	v_lshrrev_b32_e32 v32, 5, v0                               // 0000000047A0: 20400085
	v_mul_i32_i24_e32 v7, 0x60, v32                            // 0000000047A4: 0C0E40FF 00000060
	v_and_b32_e32 v32, 31, v0                                  // 0000000047AC: 2640009F
	v_add_u32_e32 v7, v32, v7                                  // 0000000047B0: 680E0F20
	v_mov_b32_e32 v8, v7                                       // 0000000047B4: 7E100307
	v_mov_b32_e32 v9, v7                                       // 0000000047B8: 7E120307
	s_and_b32 s60, 1, s46                                      // 0000000047BC: 863C2E81
	s_lshr_b32 s61, s46, 1                                     // 0000000047C0: 8F3D812E
	s_xor_b32 s62, s61, s60                                    // 0000000047C4: 883E3C3D
	v_mov_b32_e32 v32, s62                                     // 0000000047C8: 7E40023E
	v_lshlrev_b32_e32 v33, 1, v32                              // 0000000047CC: 24424081
	v_add_u32_e32 v33, s60, v33                                // 0000000047D0: 6842423C
	v_mul_i32_i24_e32 v33, 0x180, v33                          // 0000000047D4: 0C4242FF 00000180
	v_add_u32_e32 v7, v33, v7                                  // 0000000047DC: 680E0F21
	s_mul_i32 s62, s61, s46                                    // 0000000047E0: 923E2E3D
	s_sub_i32 s62, s62, s61                                    // 0000000047E4: 81BE3D3E
	s_mul_i32 s62, 32, s62                                     // 0000000047E8: 923E3EA0
	v_add_u32_e32 v7, s62, v7                                  // 0000000047EC: 680E0E3E
	s_lshl_b32 s62, s61, 1                                     // 0000000047F0: 8E3E813D
	s_add_u32 s62, 1, s62                                      // 0000000047F4: 803E3E81
	s_sub_i32 s62, s62, s60                                    // 0000000047F8: 81BE3C3E
	s_mul_i32 s62, 0x180, s62                                  // 0000000047FC: 923E3EFF 00000180
	v_add_u32_e32 v8, s62, v8                                  // 000000004804: 6810103E
	s_and_b32 s62, s60, s61                                    // 000000004808: 863E3D3C
	s_lshl_b32 s62, s62, 1                                     // 00000000480C: 8E3E813E
	v_add_u32_e32 v33, s62, v32                                // 000000004810: 6842403E
	v_mul_i32_i24_e32 v33, 32, v33                             // 000000004814: 0C4242A0
	v_add_u32_e32 v8, v33, v8                                  // 000000004818: 68101121
	v_sub_u32_e32 v33, 1, v32                                  // 00000000481C: 6A424081
	v_lshlrev_b32_e32 v33, 1, v33                              // 000000004820: 24424281
	v_add_u32_e32 v33, s60, v33                                // 000000004824: 6842423C
	v_mul_i32_i24_e32 v33, 0x180, v33                          // 000000004828: 0C4242FF 00000180
	v_add_u32_e32 v9, v33, v9                                  // 000000004830: 68121321
	s_and_b32 s62, s60, s61                                    // 000000004834: 863E3D3C
	s_sub_i32 s62, s46, s62                                    // 000000004838: 81BE3E2E
	s_mul_i32 s62, 32, s62                                     // 00000000483C: 923E3EA0
	v_add_u32_e32 v9, s62, v9                                  // 000000004840: 6812123E
	v_lshlrev_b32_e32 v7, 2, v7                                // 000000004844: 240E0E82
	v_lshlrev_b32_e32 v8, 2, v8                                // 000000004848: 24101082
	v_lshlrev_b32_e32 v9, 2, v9                                // 00000000484C: 24121282
	s_mul_i32 s60, 0x180, s59                                  // 000000004850: 923C3BFF 00000180
	v_add_u32_e32 v7, s60, v7                                  // 000000004858: 680E0E3C
	v_add_u32_e32 v8, s60, v8                                  // 00000000485C: 6810103C
	v_add_u32_e32 v9, s60, v9                                  // 000000004860: 6812123C
	s_mul_i32 s60, 3, s2                                       // 000000004864: 923C0283
	s_add_u32 s61, s50, 63                                     // 000000004868: 803DBF32
	s_lshr_b32 s61, s61, 6                                     // 00000000486C: 8F3D863D
	s_sub_i32 s72, s61, s60                                    // 000000004870: 81C83C3D
	s_cmp_lt_i32 s72, 3                                        // 000000004874: BF048348
	s_cselect_b32 s72, s72, 3                                  // 000000004878: 85488348
	s_mul_i32 s60, 0xc0, s2                                    // 00000000487C: 923C02FF 000000C0
	s_sub_i32 s64, s50, s60                                    // 000000004884: 81C03C32
	v_lshrrev_b32_e32 v32, 4, v0                               // 000000004888: 20400084
	v_and_b32_e32 v33, 1, v32                                  // 00000000488C: 26424081
	v_lshrrev_b32_e32 v34, 1, v32                              // 000000004890: 20444081
	v_and_b32_e32 v32, 15, v0                                  // 000000004894: 2640008F
	v_lshlrev_b32_e32 v12, 4, v32                              // 000000004898: 24184084
	v_lshrrev_b32_e32 v32, 3, v32                              // 00000000489C: 20404083
	v_xor_b32_e32 v32, v32, v34                                // 0000000048A0: 2A404520
	v_lshlrev_b32_e32 v32, 1, v32                              // 0000000048A4: 24404081
	v_add_u32_e32 v32, v33, v32                                // 0000000048A8: 68404121
	v_lshlrev_b32_e32 v32, 2, v32                              // 0000000048AC: 24404082
	v_add_u32_e32 v12, v32, v12                                // 0000000048B0: 68181920
	v_lshlrev_b32_e32 v12, 2, v12                              // 0000000048B4: 24181882
	s_mul_i32 s60, s46, 0x1800                                 // 0000000048B8: 923CFF2E 00001800
	v_add_u32_e32 v17, s60, v12                                // 0000000048C0: 6822183C
	s_mul_i32 s60, s46, 0x1000                                 // 0000000048C4: 923CFF2E 00001000
	v_add_u32_e32 v18, s60, v12                                // 0000000048CC: 6824183C
	v_and_b32_e32 v32, 15, v0                                  // 0000000048D0: 2640008F
	v_and_b32_e32 v33, 3, v32                                  // 0000000048D4: 26424083
	v_lshrrev_b32_e32 v34, 2, v32                              // 0000000048D8: 20444082
	v_lshlrev_b32_e32 v33, 1, v33                              // 0000000048DC: 24424281
	v_lshlrev_b32_e32 v34, 4, v34                              // 0000000048E0: 24444484
	v_add_u32_e32 v13, v33, v34                                // 0000000048E4: 681A4521
	v_lshrrev_b32_e32 v32, 5, v0                               // 0000000048E8: 20400085
	v_mul_i32_i24_e32 v33, 0x600, v32                          // 0000000048EC: 0C4240FF 00000600
	v_mul_i32_i24_e32 v34, 0x80, v32                           // 0000000048F4: 0C4440FF 00000080
	v_add_u32_e32 v19, v33, v13                                // 0000000048FC: 68261B21
	v_add_u32_e32 v13, v34, v13                                // 000000004900: 681A1B22
	v_lshrrev_b32_e32 v33, 4, v0                               // 000000004904: 20420084
	v_and_b32_e32 v33, 1, v33                                  // 000000004908: 26424281
	v_mul_i32_i24_e32 v34, 0x80, v33                           // 00000000490C: 0C4442FF 00000080
	v_add_u32_e32 v19, v34, v19                                // 000000004914: 68262722
	v_xor_b32_e32 v32, v32, v33                                // 000000004918: 2A404320
	v_mul_i32_i24_e32 v32, 8, v32                              // 00000000491C: 0C404088
	v_add_u32_e32 v13, v32, v13                                // 000000004920: 681A1B20
	v_mul_i32_i24_e32 v32, 8, v33                              // 000000004924: 0C404288
	v_xor_b32_e32 v33, 1, v33                                  // 000000004928: 2A424281
	v_mul_i32_i24_e32 v33, 8, v33                              // 00000000492C: 0C424288
	v_add_u32_e32 v20, v33, v19                                // 000000004930: 68282721
	v_add_u32_e32 v19, v32, v19                                // 000000004934: 68262720
	v_mov_b32_e32 v32, v19                                     // 000000004938: 7E400313
	v_mov_b32_e32 v33, v20                                     // 00000000493C: 7E420314
	s_and_b32 s60, 1, s46                                      // 000000004940: 863C2E81
	s_sub_i32 s61, 1, s60                                      // 000000004944: 81BD3C81
	v_mul_i32_i24_e32 v34, s61, v32                            // 000000004948: 0C44403D
	v_mul_i32_i24_e32 v35, s60, v33                            // 00000000494C: 0C46423C
	v_add_u32_e32 v19, v34, v35                                // 000000004950: 68264722
	v_mul_i32_i24_e32 v34, s60, v32                            // 000000004954: 0C44403C
	v_mul_i32_i24_e32 v35, s61, v33                            // 000000004958: 0C46423D
	v_add_u32_e32 v20, v34, v35                                // 00000000495C: 68284722
	s_mul_i32 s61, 0x100, s46                                  // 000000004960: 923D2EFF 00000100
	v_add_u32_e32 v19, s61, v19                                // 000000004968: 6826263D
	s_lshr_b32 s61, s46, 1                                     // 00000000496C: 8F3D812E
	s_mul_i32 s62, 0x100, s61                                  // 000000004970: 923E3DFF 00000100
	v_add_u32_e32 v19, s62, v19                                // 000000004978: 6826263E
	v_mov_b32_e32 v21, v19                                     // 00000000497C: 7E2A0313
	v_add_u32_e32 v21, 0x100, v21                              // 000000004980: 682A2AFF 00000100
	s_mul_i32 s60, 0x200, s60                                  // 000000004988: 923C3CFF 00000200
	s_mul_i32 s61, 0x300, s61                                  // 000000004990: 923D3DFF 00000300
	v_add_u32_e32 v20, s60, v20                                // 000000004998: 6828283C
	v_add_u32_e32 v20, s61, v20                                // 00000000499C: 6828283D
	v_lshlrev_b32_e32 v13, 2, v13                              // 0000000049A0: 241A1A82
	v_lshlrev_b32_e32 v19, 2, v19                              // 0000000049A4: 24262682
	v_lshlrev_b32_e32 v20, 2, v20                              // 0000000049A8: 24282882
	v_lshlrev_b32_e32 v21, 2, v21                              // 0000000049AC: 242A2A82
	v_lshrrev_b32_e32 v32, 4, v0                               // 0000000049B0: 20400084
	v_mul_i32_i24_e32 v16, 4, v32                              // 0000000049B4: 0C204084
	v_and_b32_e32 v33, 3, v0                                   // 0000000049B8: 26420083
	v_add_u32_e32 v16, v33, v16                                // 0000000049BC: 68202121
	v_lshlrev_b32_e32 v16, 2, v16                              // 0000000049C0: 24202082
	v_and_b32_e32 v32, 15, v0                                  // 0000000049C4: 2640008F
	v_and_b32_e32 v33, 3, v32                                  // 0000000049C8: 26424083
	v_and_b32_e32 v34, 1, v33                                  // 0000000049CC: 26444281
	v_lshlrev_b32_e32 v14, 5, v34                              // 0000000049D0: 241C4485
	v_lshrrev_b32_e32 v33, 1, v33                              // 0000000049D4: 20424281
	v_mul_i32_i24_e32 v33, 0x48, v33                           // 0000000049D8: 0C4242FF 00000048
	v_add_u32_e32 v14, v33, v14                                // 0000000049E0: 681C1D21
	v_lshrrev_b32_e32 v33, 2, v32                              // 0000000049E4: 20424082
	v_lshlrev_b32_e32 v33, 1, v33                              // 0000000049E8: 24424281
	v_add_u32_e32 v14, v33, v14                                // 0000000049EC: 681C1D21
	v_lshrrev_b32_e32 v32, 5, v0                               // 0000000049F0: 20400085
	v_mul_i32_i24_e32 v32, 0x90, v32                           // 0000000049F4: 0C4040FF 00000090
	v_and_b32_e32 v33, 16, v0                                  // 0000000049FC: 26420090
	v_add_u32_e32 v14, v32, v14                                // 000000004A00: 681C1D20
	v_add_u32_e32 v14, v33, v14                                // 000000004A04: 681C1D21
	v_lshlrev_b32_e32 v14, 2, v14                              // 000000004A08: 241C1C82
	v_lshrrev_b32_e32 v32, 5, v0                               // 000000004A0C: 20400085
	v_mul_i32_i24_e32 v15, 0x48, v32                           // 000000004A10: 0C1E40FF 00000048
	v_and_b32_e32 v32, 31, v0                                  // 000000004A18: 2640009F
	v_lshlrev_b32_e32 v32, 1, v32                              // 000000004A1C: 24404081
	v_add_u32_e32 v15, v32, v15                                // 000000004A20: 681E1F20
	s_mul_i32 s60, s46, 0x90                                   // 000000004A24: 923CFF2E 00000090
	v_add_u32_e32 v15, s60, v15                                // 000000004A2C: 681E1E3C
	v_lshlrev_b32_e32 v15, 2, v15                              // 000000004A30: 241E1E82
	s_mul_i32 s60, s46, 0x400                                  // 000000004A34: 923CFF2E 00000400
	s_add_u32 m0, 0, s60                                       // 000000004A3C: 807C3C80
	buffer_load_dwordx4 v4, s[16:19], 0 idxen lds              // 000000004A40: E05D2000 80040004
	s_add_u32 m0, 0x1000, m0                                   // 000000004A48: 807C7CFF 00001000
	s_mul_i32 s60, 4, s7                                       // 000000004A50: 923C0784
	v_add_u32_e32 v4, s60, v4                                  // 000000004A54: 6808083C
	buffer_load_dwordx4 v4, s[16:19], 0 idxen lds              // 000000004A58: E05D2000 80040004
	s_add_u32 m0, 0x1000, m0                                   // 000000004A60: 807C7CFF 00001000
	s_mul_i32 s60, 4, s7                                       // 000000004A68: 923C0784
	v_add_u32_e32 v4, s60, v4                                  // 000000004A6C: 6808083C
	buffer_load_dwordx4 v4, s[16:19], 0 idxen lds              // 000000004A70: E05D2000 80040004
	s_add_u32 m0, 0x1000, m0                                   // 000000004A78: 807C7CFF 00001000
	s_mul_i32 s60, 4, s7                                       // 000000004A80: 923C0784
	v_add_u32_e32 v4, s60, v4                                  // 000000004A84: 6808083C
	buffer_load_dwordx4 v4, s[16:19], 0 idxen lds              // 000000004A88: E05D2000 80040004
	s_add_u32 m0, 0x1000, m0                                   // 000000004A90: 807C7CFF 00001000
	s_mul_i32 s60, 4, s7                                       // 000000004A98: 923C0784
	v_add_u32_e32 v4, s60, v4                                  // 000000004A9C: 6808083C
	buffer_load_dwordx4 v4, s[16:19], 0 idxen lds              // 000000004AA0: E05D2000 80040004
	s_add_u32 m0, 0x1000, m0                                   // 000000004AA8: 807C7CFF 00001000
	s_mul_i32 s60, 4, s7                                       // 000000004AB0: 923C0784
	v_add_u32_e32 v4, s60, v4                                  // 000000004AB4: 6808083C
	buffer_load_dwordx4 v4, s[16:19], 0 idxen lds              // 000000004AB8: E05D2000 80040004
	s_add_u32 m0, 0x1000, m0                                   // 000000004AC0: 807C7CFF 00001000
	s_mul_i32 s60, 4, s7                                       // 000000004AC8: 923C0784
	v_add_u32_e32 v4, s60, v4                                  // 000000004ACC: 6808083C
	buffer_load_dwordx4 v4, s[16:19], 0 idxen lds              // 000000004AD0: E05D2000 80040004
	s_add_u32 m0, 0x1000, m0                                   // 000000004AD8: 807C7CFF 00001000
	s_mul_i32 s60, 4, s7                                       // 000000004AE0: 923C0784
	v_add_u32_e32 v4, s60, v4                                  // 000000004AE4: 6808083C
	buffer_load_dwordx4 v4, s[16:19], 0 idxen lds              // 000000004AE8: E05D2000 80040004
	s_add_u32 m0, 0x1000, m0                                   // 000000004AF0: 807C7CFF 00001000
	s_mul_i32 s60, 4, s7                                       // 000000004AF8: 923C0784
	v_add_u32_e32 v4, s60, v4                                  // 000000004AFC: 6808083C
	buffer_load_dwordx4 v4, s[16:19], 0 idxen lds              // 000000004B00: E05D2000 80040004
	s_add_u32 m0, 0x1000, m0                                   // 000000004B08: 807C7CFF 00001000
	s_mul_i32 s60, 4, s7                                       // 000000004B10: 923C0784
	v_add_u32_e32 v4, s60, v4                                  // 000000004B14: 6808083C
	buffer_load_dwordx4 v4, s[16:19], 0 idxen lds              // 000000004B18: E05D2000 80040004
	s_add_u32 m0, 0x1000, m0                                   // 000000004B20: 807C7CFF 00001000
	s_mul_i32 s60, 4, s7                                       // 000000004B28: 923C0784
	v_add_u32_e32 v4, s60, v4                                  // 000000004B2C: 6808083C
	buffer_load_dwordx4 v4, s[16:19], 0 idxen lds              // 000000004B30: E05D2000 80040004
	s_add_u32 m0, 0x1000, m0                                   // 000000004B38: 807C7CFF 00001000
	s_mul_i32 s60, 4, s7                                       // 000000004B40: 923C0784
	v_add_u32_e32 v4, s60, v4                                  // 000000004B44: 6808083C
	buffer_load_dwordx4 v4, s[16:19], 0 idxen lds              // 000000004B48: E05D2000 80040004
	s_add_u32 m0, 0x1000, m0                                   // 000000004B50: 807C7CFF 00001000
	s_mul_i32 s60, 4, s7                                       // 000000004B58: 923C0784
	v_add_u32_e32 v4, s60, v4                                  // 000000004B5C: 6808083C
	s_mul_i32 s60, s46, 0x400                                  // 000000004B60: 923CFF2E 00000400
	s_mul_i32 s61, s46, 0x100                                  // 000000004B68: 923DFF2E 00000100
	s_add_u32 s78, 0xc000, s60                                 // 000000004B70: 804E3CFF 0000C000
	s_add_u32 s79, 0xc000, s61                                 // 000000004B78: 804F3DFF 0000C000
	s_add_u32 s79, 0x1000, s79                                 // 000000004B80: 804F4FFF 00001000
	s_add_u32 s80, 0x400, s79                                  // 000000004B88: 80504FFF 00000400
	s_waitcnt vmcnt(8) lgkmcnt(0)                              // 000000004B90: BF8C0078
	s_barrier                                                  // 000000004B94: BF8A0000
	ds_read_b128 a[64:67], v18                                 // 000000004B98: DBFE0000 40000012
	ds_read_b128 a[68:71], v18 offset:1024                     // 000000004BA0: DBFE0400 44000012
	ds_read_b128 a[72:75], v18 offset:2048                     // 000000004BA8: DBFE0800 48000012
	ds_read_b128 a[76:79], v18 offset:3072                     // 000000004BB0: DBFE0C00 4C000012
	s_waitcnt lgkmcnt(0)                                       // 000000004BB8: BF8CC07F
	s_barrier                                                  // 000000004BBC: BF8A0000
	s_mov_b32 m0, s78                                          // 000000004BC0: BEFC004E
	buffer_load_dwordx4 v1, s[12:15], 0 idxen lds              // 000000004BC4: E05D2000 80030001
	s_mov_b32 m0, s79                                          // 000000004BCC: BEFC004F
	buffer_load_dword v2, s[12:15], 0 idxen lds                // 000000004BD0: E0512000 80030002
	s_mov_b32 m0, s80                                          // 000000004BD8: BEFC0050
	buffer_load_dword v3, s[12:15], 0 idxen lds                // 000000004BDC: E0512000 80030003
	s_add_u32 s78, 0x1800, s78                                 // 000000004BE4: 804E4EFF 00001800
	s_add_u32 s79, 0x1800, s79                                 // 000000004BEC: 804F4FFF 00001800
	s_add_u32 s80, 0x1800, s80                                 // 000000004BF4: 805050FF 00001800
	s_mul_i32 s60, 4, s6                                       // 000000004BFC: 923C0684
	v_add_u32_e32 v1, s60, v1                                  // 000000004C00: 6802023C
	v_add_u32_e32 v2, s60, v2                                  // 000000004C04: 6804043C
	v_add_u32_e32 v3, s60, v3                                  // 000000004C08: 6806063C
	s_mov_b32 m0, s78                                          // 000000004C0C: BEFC004E
	buffer_load_dwordx4 v1, s[12:15], 0 idxen lds              // 000000004C10: E05D2000 80030001
	s_mov_b32 m0, s79                                          // 000000004C18: BEFC004F
	buffer_load_dword v2, s[12:15], 0 idxen lds                // 000000004C1C: E0512000 80030002
	s_mov_b32 m0, s80                                          // 000000004C24: BEFC0050
	buffer_load_dword v3, s[12:15], 0 idxen lds                // 000000004C28: E0512000 80030003
	s_add_u32 s78, 0x1800, s78                                 // 000000004C30: 804E4EFF 00001800
	s_add_u32 s79, 0x1800, s79                                 // 000000004C38: 804F4FFF 00001800
	s_add_u32 s80, 0x1800, s80                                 // 000000004C40: 805050FF 00001800
	s_mul_i32 s60, 4, s6                                       // 000000004C48: 923C0684
	v_add_u32_e32 v1, s60, v1                                  // 000000004C4C: 6802023C
	v_add_u32_e32 v2, s60, v2                                  // 000000004C50: 6804043C
	v_add_u32_e32 v3, s60, v3                                  // 000000004C54: 6806063C
	s_mov_b32 m0, s78                                          // 000000004C58: BEFC004E
	buffer_load_dwordx4 v1, s[12:15], 0 idxen lds              // 000000004C5C: E05D2000 80030001
	s_mov_b32 m0, s79                                          // 000000004C64: BEFC004F
	buffer_load_dword v2, s[12:15], 0 idxen lds                // 000000004C68: E0512000 80030002
	s_mov_b32 m0, s80                                          // 000000004C70: BEFC0050
	buffer_load_dword v3, s[12:15], 0 idxen lds                // 000000004C74: E0512000 80030003
	s_add_u32 s78, 0x1800, s78                                 // 000000004C7C: 804E4EFF 00001800
	s_add_u32 s79, 0x1800, s79                                 // 000000004C84: 804F4FFF 00001800
	s_add_u32 s80, 0x1800, s80                                 // 000000004C8C: 805050FF 00001800
	s_mul_i32 s60, 4, s6                                       // 000000004C94: 923C0684
	v_add_u32_e32 v1, s60, v1                                  // 000000004C98: 6802023C
	v_add_u32_e32 v2, s60, v2                                  // 000000004C9C: 6804043C
	v_add_u32_e32 v3, s60, v3                                  // 000000004CA0: 6806063C
	s_mov_b32 m0, s78                                          // 000000004CA4: BEFC004E
	buffer_load_dwordx4 v1, s[12:15], 0 idxen lds              // 000000004CA8: E05D2000 80030001
	s_mov_b32 m0, s79                                          // 000000004CB0: BEFC004F
	buffer_load_dword v2, s[12:15], 0 idxen lds                // 000000004CB4: E0512000 80030002
	s_mov_b32 m0, s80                                          // 000000004CBC: BEFC0050
	buffer_load_dword v3, s[12:15], 0 idxen lds                // 000000004CC0: E0512000 80030003
	s_add_u32 s78, 0x1800, s78                                 // 000000004CC8: 804E4EFF 00001800
	s_add_u32 s79, 0x1800, s79                                 // 000000004CD0: 804F4FFF 00001800
	s_add_u32 s80, 0x1800, s80                                 // 000000004CD8: 805050FF 00001800
	s_mul_i32 s60, 4, s6                                       // 000000004CE0: 923C0684
	v_add_u32_e32 v1, s60, v1                                  // 000000004CE4: 6802023C
	v_add_u32_e32 v2, s60, v2                                  // 000000004CE8: 6804043C
	v_add_u32_e32 v3, s60, v3                                  // 000000004CEC: 6806063C
	s_waitcnt vmcnt(16) lgkmcnt(0)                             // 000000004CF0: BF8C4070
	s_barrier                                                  // 000000004CF4: BF8A0000
	ds_read_b128 a[80:83], v18 offset:16384                    // 000000004CF8: DBFE4000 50000012
	ds_read_b128 a[84:87], v18 offset:17408                    // 000000004D00: DBFE4400 54000012
	ds_read_b128 a[88:91], v18 offset:18432                    // 000000004D08: DBFE4800 58000012
	ds_read_b128 a[92:95], v18 offset:19456                    // 000000004D10: DBFE4C00 5C000012
	s_waitcnt lgkmcnt(0)                                       // 000000004D18: BF8CC07F
	s_barrier                                                  // 000000004D1C: BF8A0000
	s_mov_b32 m0, s78                                          // 000000004D20: BEFC004E
	buffer_load_dwordx4 v1, s[12:15], 0 idxen lds              // 000000004D24: E05D2000 80030001
	s_mov_b32 m0, s79                                          // 000000004D2C: BEFC004F
	buffer_load_dword v2, s[12:15], 0 idxen lds                // 000000004D30: E0512000 80030002
	s_mov_b32 m0, s80                                          // 000000004D38: BEFC0050
	buffer_load_dword v3, s[12:15], 0 idxen lds                // 000000004D3C: E0512000 80030003
	s_add_u32 s78, 0x1800, s78                                 // 000000004D44: 804E4EFF 00001800
	s_add_u32 s79, 0x1800, s79                                 // 000000004D4C: 804F4FFF 00001800
	s_add_u32 s80, 0x1800, s80                                 // 000000004D54: 805050FF 00001800
	s_mul_i32 s60, 4, s6                                       // 000000004D5C: 923C0684
	v_add_u32_e32 v1, s60, v1                                  // 000000004D60: 6802023C
	v_add_u32_e32 v2, s60, v2                                  // 000000004D64: 6804043C
	v_add_u32_e32 v3, s60, v3                                  // 000000004D68: 6806063C
	s_mov_b32 m0, s78                                          // 000000004D6C: BEFC004E
	buffer_load_dwordx4 v1, s[12:15], 0 idxen lds              // 000000004D70: E05D2000 80030001
	s_mov_b32 m0, s79                                          // 000000004D78: BEFC004F
	buffer_load_dword v2, s[12:15], 0 idxen lds                // 000000004D7C: E0512000 80030002
	s_mov_b32 m0, s80                                          // 000000004D84: BEFC0050
	buffer_load_dword v3, s[12:15], 0 idxen lds                // 000000004D88: E0512000 80030003
	s_add_u32 s78, 0x1800, s78                                 // 000000004D90: 804E4EFF 00001800
	s_add_u32 s79, 0x1800, s79                                 // 000000004D98: 804F4FFF 00001800
	s_add_u32 s80, 0x1800, s80                                 // 000000004DA0: 805050FF 00001800
	s_mul_i32 s60, 4, s6                                       // 000000004DA8: 923C0684
	v_add_u32_e32 v1, s60, v1                                  // 000000004DAC: 6802023C
	v_add_u32_e32 v2, s60, v2                                  // 000000004DB0: 6804043C
	v_add_u32_e32 v3, s60, v3                                  // 000000004DB4: 6806063C
	s_mov_b32 m0, s78                                          // 000000004DB8: BEFC004E
	buffer_load_dwordx4 v1, s[12:15], 0 idxen lds              // 000000004DBC: E05D2000 80030001
	s_mov_b32 m0, s79                                          // 000000004DC4: BEFC004F
	buffer_load_dword v2, s[12:15], 0 idxen lds                // 000000004DC8: E0512000 80030002
	s_mov_b32 m0, s80                                          // 000000004DD0: BEFC0050
	buffer_load_dword v3, s[12:15], 0 idxen lds                // 000000004DD4: E0512000 80030003
	s_add_u32 s78, 0x1800, s78                                 // 000000004DDC: 804E4EFF 00001800
	s_add_u32 s79, 0x1800, s79                                 // 000000004DE4: 804F4FFF 00001800
	s_add_u32 s80, 0x1800, s80                                 // 000000004DEC: 805050FF 00001800
	s_mul_i32 s60, 4, s6                                       // 000000004DF4: 923C0684
	v_add_u32_e32 v1, s60, v1                                  // 000000004DF8: 6802023C
	v_add_u32_e32 v2, s60, v2                                  // 000000004DFC: 6804043C
	v_add_u32_e32 v3, s60, v3                                  // 000000004E00: 6806063C
	s_mov_b32 m0, s78                                          // 000000004E04: BEFC004E
	buffer_load_dwordx4 v1, s[12:15], 0 idxen lds              // 000000004E08: E05D2000 80030001
	s_mov_b32 m0, s79                                          // 000000004E10: BEFC004F
	buffer_load_dword v2, s[12:15], 0 idxen lds                // 000000004E14: E0512000 80030002
	s_mov_b32 m0, s80                                          // 000000004E1C: BEFC0050
	buffer_load_dword v3, s[12:15], 0 idxen lds                // 000000004E20: E0512000 80030003
	s_add_u32 s78, 0x1800, s78                                 // 000000004E28: 804E4EFF 00001800
	s_add_u32 s79, 0x1800, s79                                 // 000000004E30: 804F4FFF 00001800
	s_add_u32 s80, 0x1800, s80                                 // 000000004E38: 805050FF 00001800
	s_mul_i32 s60, 4, s6                                       // 000000004E40: 923C0684
	v_add_u32_e32 v1, s60, v1                                  // 000000004E44: 6802023C
	v_add_u32_e32 v2, s60, v2                                  // 000000004E48: 6804043C
	v_add_u32_e32 v3, s60, v3                                  // 000000004E4C: 6806063C
	s_waitcnt vmcnt(24) lgkmcnt(0)                             // 000000004E50: BF8C4078
	s_barrier                                                  // 000000004E54: BF8A0000
	ds_read_b128 a[96:99], v18 offset:32768                    // 000000004E58: DBFE8000 60000012
	ds_read_b128 a[100:103], v18 offset:33792                  // 000000004E60: DBFE8400 64000012
	ds_read_b128 a[104:107], v18 offset:34816                  // 000000004E68: DBFE8800 68000012
	ds_read_b128 a[108:111], v18 offset:35840                  // 000000004E70: DBFE8C00 6C000012
	s_waitcnt lgkmcnt(0)                                       // 000000004E78: BF8CC07F
	s_barrier                                                  // 000000004E7C: BF8A0000
	s_mov_b32 m0, s78                                          // 000000004E80: BEFC004E
	buffer_load_dwordx4 v1, s[12:15], 0 idxen lds              // 000000004E84: E05D2000 80030001
	s_mov_b32 m0, s79                                          // 000000004E8C: BEFC004F
	buffer_load_dword v2, s[12:15], 0 idxen lds                // 000000004E90: E0512000 80030002
	s_mov_b32 m0, s80                                          // 000000004E98: BEFC0050
	buffer_load_dword v3, s[12:15], 0 idxen lds                // 000000004E9C: E0512000 80030003
	s_add_u32 s78, 0x1800, s78                                 // 000000004EA4: 804E4EFF 00001800
	s_add_u32 s79, 0x1800, s79                                 // 000000004EAC: 804F4FFF 00001800
	s_add_u32 s80, 0x1800, s80                                 // 000000004EB4: 805050FF 00001800
	s_mul_i32 s60, 4, s6                                       // 000000004EBC: 923C0684
	v_add_u32_e32 v1, s60, v1                                  // 000000004EC0: 6802023C
	v_add_u32_e32 v2, s60, v2                                  // 000000004EC4: 6804043C
	v_add_u32_e32 v3, s60, v3                                  // 000000004EC8: 6806063C
	s_mov_b32 m0, s78                                          // 000000004ECC: BEFC004E
	buffer_load_dwordx4 v1, s[12:15], 0 idxen lds              // 000000004ED0: E05D2000 80030001
	s_mov_b32 m0, s79                                          // 000000004ED8: BEFC004F
	buffer_load_dword v2, s[12:15], 0 idxen lds                // 000000004EDC: E0512000 80030002
	s_mov_b32 m0, s80                                          // 000000004EE4: BEFC0050
	buffer_load_dword v3, s[12:15], 0 idxen lds                // 000000004EE8: E0512000 80030003
	s_add_u32 s78, 0x1800, s78                                 // 000000004EF0: 804E4EFF 00001800
	s_add_u32 s79, 0x1800, s79                                 // 000000004EF8: 804F4FFF 00001800
	s_add_u32 s80, 0x1800, s80                                 // 000000004F00: 805050FF 00001800
	s_mul_i32 s60, 4, s6                                       // 000000004F08: 923C0684
	v_add_u32_e32 v1, s60, v1                                  // 000000004F0C: 6802023C
	v_add_u32_e32 v2, s60, v2                                  // 000000004F10: 6804043C
	v_add_u32_e32 v3, s60, v3                                  // 000000004F14: 6806063C
	s_mov_b32 m0, s78                                          // 000000004F18: BEFC004E
	buffer_load_dwordx4 v1, s[12:15], 0 idxen lds              // 000000004F1C: E05D2000 80030001
	s_mov_b32 m0, s79                                          // 000000004F24: BEFC004F
	buffer_load_dword v2, s[12:15], 0 idxen lds                // 000000004F28: E0512000 80030002
	s_mov_b32 m0, s80                                          // 000000004F30: BEFC0050
	buffer_load_dword v3, s[12:15], 0 idxen lds                // 000000004F34: E0512000 80030003
	s_add_u32 s78, 0x1800, s78                                 // 000000004F3C: 804E4EFF 00001800
	s_add_u32 s79, 0x1800, s79                                 // 000000004F44: 804F4FFF 00001800
	s_add_u32 s80, 0x1800, s80                                 // 000000004F4C: 805050FF 00001800
	s_mul_i32 s60, 4, s6                                       // 000000004F54: 923C0684
	v_add_u32_e32 v1, s60, v1                                  // 000000004F58: 6802023C
	v_add_u32_e32 v2, s60, v2                                  // 000000004F5C: 6804043C
	v_add_u32_e32 v3, s60, v3                                  // 000000004F60: 6806063C
	s_mov_b32 m0, s78                                          // 000000004F64: BEFC004E
	buffer_load_dwordx4 v1, s[12:15], 0 idxen lds              // 000000004F68: E05D2000 80030001
	s_mov_b32 m0, s79                                          // 000000004F70: BEFC004F
	buffer_load_dword v2, s[12:15], 0 idxen lds                // 000000004F74: E0512000 80030002
	s_mov_b32 m0, s80                                          // 000000004F7C: BEFC0050
	buffer_load_dword v3, s[12:15], 0 idxen lds                // 000000004F80: E0512000 80030003
	s_add_u32 s78, 0x1800, s78                                 // 000000004F88: 804E4EFF 00001800
	s_add_u32 s79, 0x1800, s79                                 // 000000004F90: 804F4FFF 00001800
	s_add_u32 s80, 0x1800, s80                                 // 000000004F98: 805050FF 00001800
	s_mul_i32 s60, 4, s6                                       // 000000004FA0: 923C0684
	v_add_u32_e32 v1, s60, v1                                  // 000000004FA4: 6802023C
	v_add_u32_e32 v2, s60, v2                                  // 000000004FA8: 6804043C
	v_add_u32_e32 v3, s60, v3                                  // 000000004FAC: 6806063C
	s_lshr_b32 s60, s46, 1                                     // 000000004FB0: 8F3C812E
	s_lshl_b32 s60, s60, 8                                     // 000000004FB4: 8E3C883C
	s_add_u32 s78, 0x9300, s60                                 // 000000004FB8: 804E3CFF 00009300
	s_add_u32 s79, 0x200, s78                                  // 000000004FC0: 804F4EFF 00000200
	s_add_u32 s80, 0x200, s79                                  // 000000004FC8: 80504FFF 00000200
	s_mul_i32 s60, s46, 0x400                                  // 000000004FD0: 923CFF2E 00000400
	s_add_u32 s99, 0x4800, s60                                 // 000000004FD8: 80633CFF 00004800
	s_add_u32 s100, 0x1000, s99                                // 000000004FE0: 806463FF 00001000
	s_add_u32 s101, 0x1000, s100                               // 000000004FE8: 806564FF 00001000
	s_mul_i32 s61, s46, 0x100                                  // 000000004FF0: 923DFF2E 00000100
	s_add_u32 s81, 0, s60                                      // 000000004FF8: 80513C80
	s_add_u32 s82, 0, s61                                      // 000000004FFC: 80523D80
	s_add_u32 s82, 0x1000, s82                                 // 000000005000: 805252FF 00001000
	s_add_u32 s83, 0x400, s82                                  // 000000005008: 805352FF 00000400
	s_add_u32 s84, 0x1800, s81                                 // 000000005010: 805451FF 00001800
	s_add_u32 s85, 0x1800, s82                                 // 000000005018: 805552FF 00001800
	s_add_u32 s86, 0x1800, s83                                 // 000000005020: 805653FF 00001800
	s_add_u32 s87, 0x1800, s84                                 // 000000005028: 805754FF 00001800
	s_add_u32 s88, 0x1800, s85                                 // 000000005030: 805855FF 00001800
	s_add_u32 s89, 0x1800, s86                                 // 000000005038: 805956FF 00001800
	v_add_u32_e32 v17, 0xc000, v17                             // 000000005040: 682222FF 0000C000
	v_add_u32_e32 v19, 0xc000, v19                             // 000000005048: 682626FF 0000C000
	v_add_u32_e32 v20, 0xc000, v20                             // 000000005050: 682828FF 0000C000
	v_add_u32_e32 v21, 0xc000, v21                             // 000000005058: 682A2AFF 0000C000
	s_mov_b32 s71, s5                                          // 000000005060: BEC70005
	v_and_b32_e32 v32, 3, v0                                   // 000000005064: 26400083
	v_and_b32_e32 v33, 1, v32                                  // 000000005068: 26424081
	v_lshrrev_b32_e32 v34, 1, v32                              // 00000000506C: 20444081
	v_lshrrev_b32_e32 v32, 5, v0                               // 000000005070: 20400085
	v_xor_b32_e32 v34, v34, v32                                // 000000005074: 2A444122
	v_lshlrev_b32_e32 v34, 1, v34                              // 000000005078: 24444481
	v_add_u32_e32 v33, v34, v33                                // 00000000507C: 68424322
	v_lshlrev_b32_e32 v33, 4, v33                              // 000000005080: 24424284
	v_lshrrev_b32_e32 v32, 2, v0                               // 000000005084: 20400082
	v_mul_i32_i24_e32 v32, s71, v32                            // 000000005088: 0C404047
	v_add_u32_e32 v1, v32, v33                                 // 00000000508C: 68024320
	s_mul_i32 s60, s46, 64                                     // 000000005090: 923CC02E
	v_add_u32_e32 v1, s60, v1                                  // 000000005094: 6802023C
	v_and_b32_e32 v32, 7, v0                                   // 000000005098: 26400087
	v_lshrrev_b32_e32 v33, 3, v0                               // 00000000509C: 20420083
	v_and_b32_e32 v33, 1, v33                                  // 0000000050A0: 26424281
	s_lshr_b32 s60, s46, 1                                     // 0000000050A4: 8F3C812E
	v_xor_b32_e64 v33, v33, s60                                // 0000000050A8: D1150021 00007921
	v_lshlrev_b32_e32 v33, 3, v33                              // 0000000050B0: 24424283
	v_add_u32_e32 v32, v32, v33                                // 0000000050B4: 68404320
	v_lshlrev_b32_e32 v32, 2, v32                              // 0000000050B8: 24404082
	s_mul_i32 s60, s46, 4                                      // 0000000050BC: 923C842E
	v_lshrrev_b32_e32 v33, 4, v0                               // 0000000050C0: 20420084
	v_add_u32_e64 v33, v33, s60                                // 0000000050C4: D1340021 00007921
	v_mul_i32_i24_e32 v33, s71, v33                            // 0000000050CC: 0C424247
	v_add_u32_e32 v2, v32, v33                                 // 0000000050D0: 68044320
	s_mov_b32 s60, 0x100                                       // 0000000050D4: BEBC00FF 00000100
	v_add_u32_e64 v2, v2, s60                                  // 0000000050DC: D1340002 00007902
	v_add_u32_e64 v3, v2, 64                                   // 0000000050E4: D1340003 00018102
	s_mul_i32 s60, s5, s59                                     // 0000000050EC: 923C3B05
	v_add_u32_e32 v1, s60, v1                                  // 0000000050F0: 6802023C
	v_add_u32_e32 v2, s60, v2                                  // 0000000050F4: 6804043C
	v_add_u32_e32 v3, s60, v3                                  // 0000000050F8: 6806063C
	s_mov_b32 s71, s51                                         // 0000000050FC: BEC70033
	v_and_b32_e32 v32, 3, v0                                   // 000000005100: 26400083
	v_and_b32_e32 v33, 1, v32                                  // 000000005104: 26424081
	v_lshrrev_b32_e32 v34, 1, v32                              // 000000005108: 20444081
	v_lshrrev_b32_e32 v32, 5, v0                               // 00000000510C: 20400085
	v_xor_b32_e32 v34, v34, v32                                // 000000005110: 2A444122
	v_lshlrev_b32_e32 v34, 1, v34                              // 000000005114: 24444481
	v_add_u32_e32 v33, v34, v33                                // 000000005118: 68424322
	v_lshlrev_b32_e32 v33, 4, v33                              // 00000000511C: 24424284
	v_lshrrev_b32_e32 v32, 2, v0                               // 000000005120: 20400082
	v_mul_i32_i24_e32 v32, s71, v32                            // 000000005124: 0C404047
	v_add_u32_e32 v4, v32, v33                                 // 000000005128: 68084320
	s_mul_i32 s60, s46, 64                                     // 00000000512C: 923CC02E
	v_add_u32_e32 v4, s60, v4                                  // 000000005130: 6808083C
	s_mul_i32 s60, s51, s59                                    // 000000005134: 923C3B33
	v_add_u32_e32 v4, s60, v4                                  // 000000005138: 6808083C
	v_lshrrev_b32_e32 v1, 2, v1                                // 00000000513C: 20020282
	v_lshrrev_b32_e32 v2, 2, v2                                // 000000005140: 20040482
	v_lshrrev_b32_e32 v3, 2, v3                                // 000000005144: 20060682
	;; [unrolled: 1-line block ×3, first 2 shown]
	s_mov_b32 m0, s81                                          // 00000000514C: BEFC0051
	buffer_load_dwordx4 v1, s[8:11], 0 idxen lds               // 000000005150: E05D2000 80020001
	s_mov_b32 m0, s82                                          // 000000005158: BEFC0052
	buffer_load_dword v2, s[8:11], 0 idxen lds                 // 00000000515C: E0512000 80020002
	s_mov_b32 m0, s83                                          // 000000005164: BEFC0053
	buffer_load_dword v3, s[8:11], 0 idxen lds                 // 000000005168: E0512000 80020003
	s_mov_b32 m0, s99                                          // 000000005170: BEFC0063
	buffer_load_dwordx4 v4, s[20:23], 0 idxen lds              // 000000005174: E05D2000 80050004
	s_mov_b32 m0, s78                                          // 00000000517C: BEFC004E
	buffer_load_dword v11, s[24:27], 0 idxen lds               // 000000005180: E0512000 8006000B
	v_add_u32_e32 v1, s68, v1                                  // 000000005188: 68020244
	v_add_u32_e32 v2, s68, v2                                  // 00000000518C: 68040444
	v_add_u32_e32 v3, s68, v3                                  // 000000005190: 68060644
	v_add_u32_e32 v4, s98, v4                                  // 000000005194: 68080862
	v_add_u32_e32 v11, s69, v11                                // 000000005198: 68161645
	s_mov_b32 m0, s84                                          // 00000000519C: BEFC0054
	buffer_load_dwordx4 v1, s[8:11], 0 idxen lds               // 0000000051A0: E05D2000 80020001
	s_mov_b32 m0, s85                                          // 0000000051A8: BEFC0055
	buffer_load_dword v2, s[8:11], 0 idxen lds                 // 0000000051AC: E0512000 80020002
	s_mov_b32 m0, s86                                          // 0000000051B4: BEFC0056
	buffer_load_dword v3, s[8:11], 0 idxen lds                 // 0000000051B8: E0512000 80020003
	s_mov_b32 m0, s100                                         // 0000000051C0: BEFC0064
	buffer_load_dwordx4 v4, s[20:23], 0 idxen lds              // 0000000051C4: E05D2000 80050004
	s_mov_b32 m0, s79                                          // 0000000051CC: BEFC004F
	buffer_load_dword v11, s[24:27], 0 idxen lds               // 0000000051D0: E0512000 8006000B
	v_add_u32_e32 v1, s68, v1                                  // 0000000051D8: 68020244
	v_add_u32_e32 v2, s68, v2                                  // 0000000051DC: 68040444
	v_add_u32_e32 v3, s68, v3                                  // 0000000051E0: 68060644
	v_add_u32_e32 v4, s98, v4                                  // 0000000051E4: 68080862
	v_add_u32_e32 v11, s69, v11                                // 0000000051E8: 68161645
	s_waitcnt vmcnt(5) lgkmcnt(0)                              // 0000000051EC: BF8C0075
	s_barrier                                                  // 0000000051F0: BF8A0000
	ds_read_b128 v[224:227], v12                               // 0000000051F4: D9FE0000 E000000C
	ds_read_b128 v[228:231], v12 offset:1024                   // 0000000051FC: D9FE0400 E400000C
	ds_read_b128 v[232:235], v12 offset:2048                   // 000000005204: D9FE0800 E800000C
	ds_read_b128 v[236:239], v12 offset:3072                   // 00000000520C: D9FE0C00 EC00000C
	ds_read_b128 v[240:243], v12 offset:4096                   // 000000005214: D9FE1000 F000000C
	ds_read_b128 v[244:247], v12 offset:5120                   // 00000000521C: D9FE1400 F400000C
	ds_read_b32 v104, v16 offset:37632                         // 000000005224: D86C9300 68000010
	ds_read_b32 v126, v16 offset:37888                         // 00000000522C: D86C9400 7E000010
	ds_read_b128 a[0:3], v17                                   // 000000005234: DBFE0000 00000011
	ds_read_b128 a[4:7], v17 offset:1024                       // 00000000523C: DBFE0400 04000011
	ds_read_b128 a[8:11], v17 offset:2048                      // 000000005244: DBFE0800 08000011
	ds_read_b128 a[12:15], v17 offset:3072                     // 00000000524C: DBFE0C00 0C000011
	ds_read_b128 a[16:19], v17 offset:4096                     // 000000005254: DBFE1000 10000011
	ds_read_b128 a[20:23], v17 offset:5120                     // 00000000525C: DBFE1400 14000011
	ds_read_b128 a[24:27], v17 offset:24576                    // 000000005264: DBFE6000 18000011
	ds_read_b128 a[28:31], v17 offset:25600                    // 00000000526C: DBFE6400 1C000011
	ds_read_b128 a[32:35], v17 offset:26624                    // 000000005274: DBFE6800 20000011
	ds_read_b128 a[36:39], v17 offset:27648                    // 00000000527C: DBFE6C00 24000011
	ds_read_b128 a[40:43], v17 offset:28672                    // 000000005284: DBFE7000 28000011
	ds_read_b128 a[44:47], v17 offset:29696                    // 00000000528C: DBFE7400 2C000011
	v_accvgpr_write_b32 a112, 0                                // 000000005294: D3D94070 18000080
	v_accvgpr_write_b32 a113, 0                                // 00000000529C: D3D94071 18000080
	v_accvgpr_write_b32 a114, 0                                // 0000000052A4: D3D94072 18000080
	v_accvgpr_write_b32 a115, 0                                // 0000000052AC: D3D94073 18000080
	v_accvgpr_write_b32 a116, 0                                // 0000000052B4: D3D94074 18000080
	v_accvgpr_write_b32 a117, 0                                // 0000000052BC: D3D94075 18000080
	v_accvgpr_write_b32 a118, 0                                // 0000000052C4: D3D94076 18000080
	v_accvgpr_write_b32 a119, 0                                // 0000000052CC: D3D94077 18000080
	v_accvgpr_write_b32 a120, 0                                // 0000000052D4: D3D94078 18000080
	v_accvgpr_write_b32 a121, 0                                // 0000000052DC: D3D94079 18000080
	v_accvgpr_write_b32 a122, 0                                // 0000000052E4: D3D9407A 18000080
	v_accvgpr_write_b32 a123, 0                                // 0000000052EC: D3D9407B 18000080
	v_accvgpr_write_b32 a124, 0                                // 0000000052F4: D3D9407C 18000080
	v_accvgpr_write_b32 a125, 0                                // 0000000052FC: D3D9407D 18000080
	v_accvgpr_write_b32 a126, 0                                // 000000005304: D3D9407E 18000080
	v_accvgpr_write_b32 a127, 0                                // 00000000530C: D3D9407F 18000080
	v_accvgpr_write_b32 a128, 0                                // 000000005314: D3D94080 18000080
	v_accvgpr_write_b32 a129, 0                                // 00000000531C: D3D94081 18000080
	v_accvgpr_write_b32 a130, 0                                // 000000005324: D3D94082 18000080
	v_accvgpr_write_b32 a131, 0                                // 00000000532C: D3D94083 18000080
	v_accvgpr_write_b32 a132, 0                                // 000000005334: D3D94084 18000080
	v_accvgpr_write_b32 a133, 0                                // 00000000533C: D3D94085 18000080
	v_accvgpr_write_b32 a134, 0                                // 000000005344: D3D94086 18000080
	v_accvgpr_write_b32 a135, 0                                // 00000000534C: D3D94087 18000080
	v_accvgpr_write_b32 a136, 0                                // 000000005354: D3D94088 18000080
	v_accvgpr_write_b32 a137, 0                                // 00000000535C: D3D94089 18000080
	v_accvgpr_write_b32 a138, 0                                // 000000005364: D3D9408A 18000080
	v_accvgpr_write_b32 a139, 0                                // 00000000536C: D3D9408B 18000080
	v_accvgpr_write_b32 a140, 0                                // 000000005374: D3D9408C 18000080
	v_accvgpr_write_b32 a141, 0                                // 00000000537C: D3D9408D 18000080
	v_accvgpr_write_b32 a142, 0                                // 000000005384: D3D9408E 18000080
	v_accvgpr_write_b32 a143, 0                                // 00000000538C: D3D9408F 18000080
	v_accvgpr_write_b32 a144, 0                                // 000000005394: D3D94090 18000080
	v_accvgpr_write_b32 a145, 0                                // 00000000539C: D3D94091 18000080
	v_accvgpr_write_b32 a146, 0                                // 0000000053A4: D3D94092 18000080
	v_accvgpr_write_b32 a147, 0                                // 0000000053AC: D3D94093 18000080
	v_accvgpr_write_b32 a148, 0                                // 0000000053B4: D3D94094 18000080
	v_accvgpr_write_b32 a149, 0                                // 0000000053BC: D3D94095 18000080
	v_accvgpr_write_b32 a150, 0                                // 0000000053C4: D3D94096 18000080
	v_accvgpr_write_b32 a151, 0                                // 0000000053CC: D3D94097 18000080
	v_accvgpr_write_b32 a152, 0                                // 0000000053D4: D3D94098 18000080
	v_accvgpr_write_b32 a153, 0                                // 0000000053DC: D3D94099 18000080
	v_accvgpr_write_b32 a154, 0                                // 0000000053E4: D3D9409A 18000080
	v_accvgpr_write_b32 a155, 0                                // 0000000053EC: D3D9409B 18000080
	v_accvgpr_write_b32 a156, 0                                // 0000000053F4: D3D9409C 18000080
	v_accvgpr_write_b32 a157, 0                                // 0000000053FC: D3D9409D 18000080
	v_accvgpr_write_b32 a158, 0                                // 000000005404: D3D9409E 18000080
	v_accvgpr_write_b32 a159, 0                                // 00000000540C: D3D9409F 18000080
	v_accvgpr_write_b32 a160, 0                                // 000000005414: D3D940A0 18000080
	v_accvgpr_write_b32 a161, 0                                // 00000000541C: D3D940A1 18000080
	v_accvgpr_write_b32 a162, 0                                // 000000005424: D3D940A2 18000080
	v_accvgpr_write_b32 a163, 0                                // 00000000542C: D3D940A3 18000080
	v_accvgpr_write_b32 a164, 0                                // 000000005434: D3D940A4 18000080
	v_accvgpr_write_b32 a165, 0                                // 00000000543C: D3D940A5 18000080
	v_accvgpr_write_b32 a166, 0                                // 000000005444: D3D940A6 18000080
	v_accvgpr_write_b32 a167, 0                                // 00000000544C: D3D940A7 18000080
	v_accvgpr_write_b32 a168, 0                                // 000000005454: D3D940A8 18000080
	v_accvgpr_write_b32 a169, 0                                // 00000000545C: D3D940A9 18000080
	v_accvgpr_write_b32 a170, 0                                // 000000005464: D3D940AA 18000080
	v_accvgpr_write_b32 a171, 0                                // 00000000546C: D3D940AB 18000080
	v_accvgpr_write_b32 a172, 0                                // 000000005474: D3D940AC 18000080
	v_accvgpr_write_b32 a173, 0                                // 00000000547C: D3D940AD 18000080
	v_accvgpr_write_b32 a174, 0                                // 000000005484: D3D940AE 18000080
	v_accvgpr_write_b32 a175, 0                                // 00000000548C: D3D940AF 18000080
	v_accvgpr_write_b32 a176, 0                                // 000000005494: D3D940B0 18000080
	v_accvgpr_write_b32 a177, 0                                // 00000000549C: D3D940B1 18000080
	v_accvgpr_write_b32 a178, 0                                // 0000000054A4: D3D940B2 18000080
	v_accvgpr_write_b32 a179, 0                                // 0000000054AC: D3D940B3 18000080
	v_accvgpr_write_b32 a180, 0                                // 0000000054B4: D3D940B4 18000080
	v_accvgpr_write_b32 a181, 0                                // 0000000054BC: D3D940B5 18000080
	v_accvgpr_write_b32 a182, 0                                // 0000000054C4: D3D940B6 18000080
	v_accvgpr_write_b32 a183, 0                                // 0000000054CC: D3D940B7 18000080
	v_accvgpr_write_b32 a184, 0                                // 0000000054D4: D3D940B8 18000080
	v_accvgpr_write_b32 a185, 0                                // 0000000054DC: D3D940B9 18000080
	v_accvgpr_write_b32 a186, 0                                // 0000000054E4: D3D940BA 18000080
	v_accvgpr_write_b32 a187, 0                                // 0000000054EC: D3D940BB 18000080
	v_accvgpr_write_b32 a188, 0                                // 0000000054F4: D3D940BC 18000080
	v_accvgpr_write_b32 a189, 0                                // 0000000054FC: D3D940BD 18000080
	v_accvgpr_write_b32 a190, 0                                // 000000005504: D3D940BE 18000080
	v_accvgpr_write_b32 a191, 0                                // 00000000550C: D3D940BF 18000080
	v_accvgpr_write_b32 a192, 0                                // 000000005514: D3D940C0 18000080
	v_accvgpr_write_b32 a193, 0                                // 00000000551C: D3D940C1 18000080
	v_accvgpr_write_b32 a194, 0                                // 000000005524: D3D940C2 18000080
	v_accvgpr_write_b32 a195, 0                                // 00000000552C: D3D940C3 18000080
	v_accvgpr_write_b32 a196, 0                                // 000000005534: D3D940C4 18000080
	v_accvgpr_write_b32 a197, 0                                // 00000000553C: D3D940C5 18000080
	v_accvgpr_write_b32 a198, 0                                // 000000005544: D3D940C6 18000080
	v_accvgpr_write_b32 a199, 0                                // 00000000554C: D3D940C7 18000080
	v_accvgpr_write_b32 a200, 0                                // 000000005554: D3D940C8 18000080
	v_accvgpr_write_b32 a201, 0                                // 00000000555C: D3D940C9 18000080
	v_accvgpr_write_b32 a202, 0                                // 000000005564: D3D940CA 18000080
	v_accvgpr_write_b32 a203, 0                                // 00000000556C: D3D940CB 18000080
	v_accvgpr_write_b32 a204, 0                                // 000000005574: D3D940CC 18000080
	v_accvgpr_write_b32 a205, 0                                // 00000000557C: D3D940CD 18000080
	v_accvgpr_write_b32 a206, 0                                // 000000005584: D3D940CE 18000080
	v_accvgpr_write_b32 a207, 0                                // 00000000558C: D3D940CF 18000080
	v_accvgpr_write_b32 a208, 0                                // 000000005594: D3D940D0 18000080
	v_accvgpr_write_b32 a209, 0                                // 00000000559C: D3D940D1 18000080
	v_accvgpr_write_b32 a210, 0                                // 0000000055A4: D3D940D2 18000080
	v_accvgpr_write_b32 a211, 0                                // 0000000055AC: D3D940D3 18000080
	v_accvgpr_write_b32 a212, 0                                // 0000000055B4: D3D940D4 18000080
	v_accvgpr_write_b32 a213, 0                                // 0000000055BC: D3D940D5 18000080
	v_accvgpr_write_b32 a214, 0                                // 0000000055C4: D3D940D6 18000080
	v_accvgpr_write_b32 a215, 0                                // 0000000055CC: D3D940D7 18000080
	v_accvgpr_write_b32 a216, 0                                // 0000000055D4: D3D940D8 18000080
	v_accvgpr_write_b32 a217, 0                                // 0000000055DC: D3D940D9 18000080
	v_accvgpr_write_b32 a218, 0                                // 0000000055E4: D3D940DA 18000080
	v_accvgpr_write_b32 a219, 0                                // 0000000055EC: D3D940DB 18000080
	v_accvgpr_write_b32 a220, 0                                // 0000000055F4: D3D940DC 18000080
	v_accvgpr_write_b32 a221, 0                                // 0000000055FC: D3D940DD 18000080
	v_accvgpr_write_b32 a222, 0                                // 000000005604: D3D940DE 18000080
	v_accvgpr_write_b32 a223, 0                                // 00000000560C: D3D940DF 18000080
	v_accvgpr_write_b32 a224, 0                                // 000000005614: D3D940E0 18000080
	v_accvgpr_write_b32 a225, 0                                // 00000000561C: D3D940E1 18000080
	v_accvgpr_write_b32 a226, 0                                // 000000005624: D3D940E2 18000080
	v_accvgpr_write_b32 a227, 0                                // 00000000562C: D3D940E3 18000080
	v_accvgpr_write_b32 a228, 0                                // 000000005634: D3D940E4 18000080
	v_accvgpr_write_b32 a229, 0                                // 00000000563C: D3D940E5 18000080
	v_accvgpr_write_b32 a230, 0                                // 000000005644: D3D940E6 18000080
	v_accvgpr_write_b32 a231, 0                                // 00000000564C: D3D940E7 18000080
	v_accvgpr_write_b32 a232, 0                                // 000000005654: D3D940E8 18000080
	v_accvgpr_write_b32 a233, 0                                // 00000000565C: D3D940E9 18000080
	v_accvgpr_write_b32 a234, 0                                // 000000005664: D3D940EA 18000080
	v_accvgpr_write_b32 a235, 0                                // 00000000566C: D3D940EB 18000080
	v_accvgpr_write_b32 a236, 0                                // 000000005674: D3D940EC 18000080
	v_accvgpr_write_b32 a237, 0                                // 00000000567C: D3D940ED 18000080
	v_accvgpr_write_b32 a238, 0                                // 000000005684: D3D940EE 18000080
	v_accvgpr_write_b32 a239, 0                                // 00000000568C: D3D940EF 18000080
	v_accvgpr_write_b32 a240, 0                                // 000000005694: D3D940F0 18000080
	v_accvgpr_write_b32 a241, 0                                // 00000000569C: D3D940F1 18000080
	v_accvgpr_write_b32 a242, 0                                // 0000000056A4: D3D940F2 18000080
	v_accvgpr_write_b32 a243, 0                                // 0000000056AC: D3D940F3 18000080
	v_accvgpr_write_b32 a244, 0                                // 0000000056B4: D3D940F4 18000080
	v_accvgpr_write_b32 a245, 0                                // 0000000056BC: D3D940F5 18000080
	v_accvgpr_write_b32 a246, 0                                // 0000000056C4: D3D940F6 18000080
	v_accvgpr_write_b32 a247, 0                                // 0000000056CC: D3D940F7 18000080
	v_accvgpr_write_b32 a248, 0                                // 0000000056D4: D3D940F8 18000080
	v_accvgpr_write_b32 a249, 0                                // 0000000056DC: D3D940F9 18000080
	v_accvgpr_write_b32 a250, 0                                // 0000000056E4: D3D940FA 18000080
	v_accvgpr_write_b32 a251, 0                                // 0000000056EC: D3D940FB 18000080
	v_accvgpr_write_b32 a252, 0                                // 0000000056F4: D3D940FC 18000080
	v_accvgpr_write_b32 a253, 0                                // 0000000056FC: D3D940FD 18000080
	v_accvgpr_write_b32 a254, 0                                // 000000005704: D3D940FE 18000080
	v_accvgpr_write_b32 a255, 0                                // 00000000570C: D3D940FF 18000080
	v_mov_b32_e32 v128, 0                                      // 000000005714: 7F000280
	v_mov_b32_e32 v129, 0                                      // 000000005718: 7F020280
	v_mov_b32_e32 v130, 0                                      // 00000000571C: 7F040280
	v_mov_b32_e32 v131, 0                                      // 000000005720: 7F060280
	v_mov_b32_e32 v132, 0                                      // 000000005724: 7F080280
	v_mov_b32_e32 v133, 0                                      // 000000005728: 7F0A0280
	v_mov_b32_e32 v134, 0                                      // 00000000572C: 7F0C0280
	v_mov_b32_e32 v135, 0                                      // 000000005730: 7F0E0280
	v_mov_b32_e32 v136, 0                                      // 000000005734: 7F100280
	v_mov_b32_e32 v137, 0                                      // 000000005738: 7F120280
	v_mov_b32_e32 v138, 0                                      // 00000000573C: 7F140280
	v_mov_b32_e32 v139, 0                                      // 000000005740: 7F160280
	v_mov_b32_e32 v140, 0                                      // 000000005744: 7F180280
	v_mov_b32_e32 v141, 0                                      // 000000005748: 7F1A0280
	v_mov_b32_e32 v142, 0                                      // 00000000574C: 7F1C0280
	v_mov_b32_e32 v143, 0                                      // 000000005750: 7F1E0280
	v_mov_b32_e32 v144, 0                                      // 000000005754: 7F200280
	v_mov_b32_e32 v145, 0                                      // 000000005758: 7F220280
	v_mov_b32_e32 v146, 0                                      // 00000000575C: 7F240280
	v_mov_b32_e32 v147, 0                                      // 000000005760: 7F260280
	v_mov_b32_e32 v148, 0                                      // 000000005764: 7F280280
	v_mov_b32_e32 v149, 0                                      // 000000005768: 7F2A0280
	v_mov_b32_e32 v150, 0                                      // 00000000576C: 7F2C0280
	v_mov_b32_e32 v151, 0                                      // 000000005770: 7F2E0280
	v_mov_b32_e32 v152, 0                                      // 000000005774: 7F300280
	v_mov_b32_e32 v153, 0                                      // 000000005778: 7F320280
	v_mov_b32_e32 v154, 0                                      // 00000000577C: 7F340280
	v_mov_b32_e32 v155, 0                                      // 000000005780: 7F360280
	v_mov_b32_e32 v156, 0                                      // 000000005784: 7F380280
	v_mov_b32_e32 v157, 0                                      // 000000005788: 7F3A0280
	v_mov_b32_e32 v158, 0                                      // 00000000578C: 7F3C0280
	v_mov_b32_e32 v159, 0                                      // 000000005790: 7F3E0280
	v_mov_b32_e32 v160, 0                                      // 000000005794: 7F400280
	v_mov_b32_e32 v161, 0                                      // 000000005798: 7F420280
	v_mov_b32_e32 v162, 0                                      // 00000000579C: 7F440280
	v_mov_b32_e32 v163, 0                                      // 0000000057A0: 7F460280
	v_mov_b32_e32 v164, 0                                      // 0000000057A4: 7F480280
	v_mov_b32_e32 v165, 0                                      // 0000000057A8: 7F4A0280
	v_mov_b32_e32 v166, 0                                      // 0000000057AC: 7F4C0280
	v_mov_b32_e32 v167, 0                                      // 0000000057B0: 7F4E0280
	v_mov_b32_e32 v168, 0                                      // 0000000057B4: 7F500280
	v_mov_b32_e32 v169, 0                                      // 0000000057B8: 7F520280
	v_mov_b32_e32 v170, 0                                      // 0000000057BC: 7F540280
	v_mov_b32_e32 v171, 0                                      // 0000000057C0: 7F560280
	v_mov_b32_e32 v172, 0                                      // 0000000057C4: 7F580280
	v_mov_b32_e32 v173, 0                                      // 0000000057C8: 7F5A0280
	v_mov_b32_e32 v174, 0                                      // 0000000057CC: 7F5C0280
	v_mov_b32_e32 v175, 0                                      // 0000000057D0: 7F5E0280
	v_mov_b32_e32 v176, 0                                      // 0000000057D4: 7F600280
	v_mov_b32_e32 v177, 0                                      // 0000000057D8: 7F620280
	v_mov_b32_e32 v178, 0                                      // 0000000057DC: 7F640280
	v_mov_b32_e32 v179, 0                                      // 0000000057E0: 7F660280
	v_mov_b32_e32 v180, 0                                      // 0000000057E4: 7F680280
	v_mov_b32_e32 v181, 0                                      // 0000000057E8: 7F6A0280
	v_mov_b32_e32 v182, 0                                      // 0000000057EC: 7F6C0280
	v_mov_b32_e32 v183, 0                                      // 0000000057F0: 7F6E0280
	v_mov_b32_e32 v184, 0                                      // 0000000057F4: 7F700280
	v_mov_b32_e32 v185, 0                                      // 0000000057F8: 7F720280
	v_mov_b32_e32 v186, 0                                      // 0000000057FC: 7F740280
	v_mov_b32_e32 v187, 0                                      // 000000005800: 7F760280
	v_mov_b32_e32 v188, 0                                      // 000000005804: 7F780280
	v_mov_b32_e32 v189, 0                                      // 000000005808: 7F7A0280
	v_mov_b32_e32 v190, 0                                      // 00000000580C: 7F7C0280
	v_mov_b32_e32 v191, 0                                      // 000000005810: 7F7E0280
	v_mov_b32_e32 v192, 0                                      // 000000005814: 7F800280
	v_mov_b32_e32 v193, 0                                      // 000000005818: 7F820280
	v_mov_b32_e32 v194, 0                                      // 00000000581C: 7F840280
	v_mov_b32_e32 v195, 0                                      // 000000005820: 7F860280
	v_mov_b32_e32 v196, 0                                      // 000000005824: 7F880280
	v_mov_b32_e32 v197, 0                                      // 000000005828: 7F8A0280
	v_mov_b32_e32 v198, 0                                      // 00000000582C: 7F8C0280
	v_mov_b32_e32 v199, 0                                      // 000000005830: 7F8E0280
	v_mov_b32_e32 v200, 0                                      // 000000005834: 7F900280
	v_mov_b32_e32 v201, 0                                      // 000000005838: 7F920280
	v_mov_b32_e32 v202, 0                                      // 00000000583C: 7F940280
	v_mov_b32_e32 v203, 0                                      // 000000005840: 7F960280
	v_mov_b32_e32 v204, 0                                      // 000000005844: 7F980280
	v_mov_b32_e32 v205, 0                                      // 000000005848: 7F9A0280
	v_mov_b32_e32 v206, 0                                      // 00000000584C: 7F9C0280
	v_mov_b32_e32 v207, 0                                      // 000000005850: 7F9E0280
	v_mov_b32_e32 v208, 0                                      // 000000005854: 7FA00280
	v_mov_b32_e32 v209, 0                                      // 000000005858: 7FA20280
	v_mov_b32_e32 v210, 0                                      // 00000000585C: 7FA40280
	v_mov_b32_e32 v211, 0                                      // 000000005860: 7FA60280
	v_mov_b32_e32 v212, 0                                      // 000000005864: 7FA80280
	v_mov_b32_e32 v213, 0                                      // 000000005868: 7FAA0280
	v_mov_b32_e32 v214, 0                                      // 00000000586C: 7FAC0280
	v_mov_b32_e32 v215, 0                                      // 000000005870: 7FAE0280
	v_mov_b32_e32 v216, 0                                      // 000000005874: 7FB00280
	v_mov_b32_e32 v217, 0                                      // 000000005878: 7FB20280
	v_mov_b32_e32 v218, 0                                      // 00000000587C: 7FB40280
	v_mov_b32_e32 v219, 0                                      // 000000005880: 7FB60280
	v_mov_b32_e32 v220, 0                                      // 000000005884: 7FB80280
	v_mov_b32_e32 v221, 0                                      // 000000005888: 7FBA0280
	v_mov_b32_e32 v222, 0                                      // 00000000588C: 7FBC0280
	v_mov_b32_e32 v223, 0                                      // 000000005890: 7FBE0280
	v_mov_b32_e32 v108, 0                                      // 000000005894: 7ED80280
	v_mov_b32_e32 v109, 0                                      // 000000005898: 7EDA0280
	v_mov_b32_e32 v110, 0                                      // 00000000589C: 7EDC0280
	v_mov_b32_e32 v111, 0                                      // 0000000058A0: 7EDE0280
	v_mov_b32_e32 v112, 0                                      // 0000000058A4: 7EE00280
	v_mov_b32_e32 v113, 0                                      // 0000000058A8: 7EE20280
	v_mov_b32_e32 v114, 0                                      // 0000000058AC: 7EE40280
	v_mov_b32_e32 v115, 0                                      // 0000000058B0: 7EE60280
	v_mov_b32_e32 v116, 0                                      // 0000000058B4: 7EE80280
	v_mov_b32_e32 v117, 0                                      // 0000000058B8: 7EEA0280
	v_mov_b32_e32 v118, 0                                      // 0000000058BC: 7EEC0280
	v_mov_b32_e32 v119, 0                                      // 0000000058C0: 7EEE0280
	s_waitcnt vmcnt(0) lgkmcnt(0)                              // 0000000058C4: BF8C0070
	s_barrier                                                  // 0000000058C8: BF8A0000
	s_mov_b32 m0, s87                                          // 0000000058CC: BEFC0057
	buffer_load_dwordx4 v1, s[8:11], 0 idxen lds               // 0000000058D0: E05D2000 80020001
	s_mov_b32 m0, s88                                          // 0000000058D8: BEFC0058
	buffer_load_dword v2, s[8:11], 0 idxen lds                 // 0000000058DC: E0512000 80020002
	s_mov_b32 m0, s89                                          // 0000000058E4: BEFC0059
	buffer_load_dword v3, s[8:11], 0 idxen lds                 // 0000000058E8: E0512000 80020003
	s_mov_b32 m0, s101                                         // 0000000058F0: BEFC0065
	buffer_load_dwordx4 v4, s[20:23], 0 idxen lds              // 0000000058F4: E05D2000 80050004
	s_mov_b32 m0, s80                                          // 0000000058FC: BEFC0050
	buffer_load_dword v11, s[24:27], 0 idxen lds               // 000000005900: E0512000 8006000B
	v_cmp_eq_f32_e32 vcc, v127, v104                           // 000000005908: 7C84D17F
	v_cndmask_b32_e64 v104, v104, 0, vcc                       // 00000000590C: D1000068 01A90168
	v_mul_f32_e32 v104, s48, v104                              // 000000005914: 0AD0D030
	v_add_u32_e32 v1, s68, v1                                  // 000000005918: 68020244
	v_add_u32_e32 v2, s68, v2                                  // 00000000591C: 68040444
	v_add_u32_e32 v3, s68, v3                                  // 000000005920: 68060644
	v_add_u32_e32 v4, s98, v4                                  // 000000005924: 68080862
	v_add_u32_e32 v11, s69, v11                                // 000000005928: 68161645
	v_mov_b32_dpp v107, v104 quad_perm:[3,3,3,3] row_mask:0xf bank_mask:0xf// 00000000592C: 7ED602FA FF00FF68
	v_mov_b32_dpp v106, v104 quad_perm:[2,2,2,2] row_mask:0xf bank_mask:0xf// 000000005934: 7ED402FA FF00AA68
	v_mov_b32_dpp v105, v104 quad_perm:[1,1,1,1] row_mask:0xf bank_mask:0xf// 00000000593C: 7ED202FA FF005568
	v_mov_b32_dpp v104, v104 quad_perm:[0,0,0,0] row_mask:0xf bank_mask:0xf// 000000005944: 7ED002FA FF000068
	s_cmp_lt_i32 s46, 2                                        // 00000000594C: BF04822E
	s_cbranch_scc0 label_0ED4                                  // 000000005950: BF840870
	s_nop 0                                                    // 000000005954: BF800000
	s_nop 0                                                    // 000000005958: BF800000

000000000000595c <label_0657>:
	s_waitcnt lgkmcnt(2)                                       // 00000000595C: BF8CC27F
	v_mfma_f32_16x16x32_bf16 v[36:39], v[224:227], a[0:3], 0   // 000000005960: D3B50024 120201E0
	ds_read_b128 a[48:51], v17 offset:49152                    // 000000005968: DBFEC000 30000011
	ds_read_b128 a[52:55], v17 offset:50176                    // 000000005970: DBFEC400 34000011
	v_mfma_f32_16x16x32_bf16 v[36:39], v[228:231], a[4:7], v[36:39]// 000000005978: D3B50024 149209E4
	v_add_u32_e32 v7, s66, v7                                  // 000000005980: 680E0E42
	v_add_u32_e32 v8, s66, v8                                  // 000000005984: 68101042
	v_add_u32_e32 v9, s66, v9                                  // 000000005988: 68121242
	v_mfma_f32_16x16x32_bf16 v[36:39], v[232:235], a[8:11], v[36:39]// 00000000598C: D3B50024 149211E8
	ds_read_b128 a[56:59], v17 offset:51200                    // 000000005994: DBFEC800 38000011
	ds_read_b128 a[60:63], v17 offset:52224                    // 00000000599C: DBFECC00 3C000011
	v_mfma_f32_16x16x32_bf16 v[36:39], v[236:239], a[12:15], v[36:39]// 0000000059A4: D3B50024 149219EC
	v_cvt_pk_bf16_f32 v108, v108, v109                         // 0000000059AC: D268006C 0002DB6C
	v_cvt_pk_bf16_f32 v109, v110, v111                         // 0000000059B4: D268006D 0002DF6E
	v_mfma_f32_16x16x32_bf16 v[36:39], v[240:243], a[16:19], v[36:39]// 0000000059BC: D3B50024 149221F0
	ds_read_b128 v[248:251], v17 offset:53248                  // 0000000059C4: D9FED000 F8000011
	ds_read_b128 v[252:255], v17 offset:54272                  // 0000000059CC: D9FED400 FC000011
	v_mfma_f32_16x16x32_bf16 v[36:39], v[244:247], a[20:23], v[36:39]// 0000000059D4: D3B50024 149229F4
	v_mul_f32_e32 v114, s47, v114                              // 0000000059DC: 0AE4E42F
	v_mul_f32_e32 v115, s47, v115                              // 0000000059E0: 0AE6E62F
	v_mfma_f32_16x16x32_bf16 v[40:43], v[224:227], a[24:27], 0 // 0000000059E4: D3B50028 120231E0
	ds_read_b128 v[72:75], v12 offset:18432                    // 0000000059EC: D9FE4800 4800000C
	ds_read_b128 v[76:79], v12 offset:19456                    // 0000000059F4: D9FE4C00 4C00000C
	v_mfma_f32_16x16x32_bf16 v[40:43], v[228:231], a[28:31], v[40:43]// 0000000059FC: D3B50028 14A239E4
	v_mul_f32_e32 v116, s47, v116                              // 000000005A04: 0AE8E82F
	v_mul_f32_e32 v117, s47, v117                              // 000000005A08: 0AEAEA2F
	v_mfma_f32_16x16x32_bf16 v[40:43], v[232:235], a[32:35], v[40:43]// 000000005A0C: D3B50028 14A241E8
	ds_read_b128 v[80:83], v12 offset:20480                    // 000000005A14: D9FE5000 5000000C
	ds_read_b128 v[84:87], v12 offset:21504                    // 000000005A1C: D9FE5400 5400000C
	v_mfma_f32_16x16x32_bf16 v[40:43], v[236:239], a[36:39], v[40:43]// 000000005A24: D3B50028 14A249EC
	v_mul_f32_e32 v118, s47, v118                              // 000000005A2C: 0AECEC2F
	v_mul_f32_e32 v119, s47, v119                              // 000000005A30: 0AEEEE2F
	v_cvt_pk_bf16_f32 v110, v112, v113                         // 000000005A34: D268006E 0002E370
	v_cvt_pk_bf16_f32 v111, v114, v115                         // 000000005A3C: D268006F 0002E772
	s_waitcnt lgkmcnt(10)                                      // 000000005A44: BF8CCA7F
	v_mfma_f32_16x16x32_bf16 v[40:43], v[240:243], a[40:43], v[40:43]// 000000005A48: D3B50028 14A251F0
	ds_read_b64_tr_b16 v[88:89], v13 offset:18432              // 000000005A50: D9C64800 5800000D
	ds_read_b64_tr_b16 v[90:91], v13 offset:18688              // 000000005A58: D9C64900 5A00000D
	v_mfma_f32_16x16x32_bf16 v[40:43], v[244:247], a[44:47], v[40:43]// 000000005A60: D3B50028 14A259F4
	v_fma_f32 v36, v36, s57, -v104                             // 000000005A68: D1CB0024 85A07324
	v_fma_f32 v37, v37, s57, -v105                             // 000000005A70: D1CB0025 85A47325
	s_waitcnt lgkmcnt(10)                                      // 000000005A78: BF8CCA7F
	v_mfma_f32_16x16x32_bf16 v[44:47], v[224:227], a[48:51], 0 // 000000005A7C: D3B5002C 120261E0
	ds_read_b64_tr_b16 v[92:93], v13 offset:19456              // 000000005A84: D9C64C00 5C00000D
	ds_read_b64_tr_b16 v[94:95], v13 offset:19712              // 000000005A8C: D9C64D00 5E00000D
	v_mfma_f32_16x16x32_bf16 v[44:47], v[228:231], a[52:55], v[44:47]// 000000005A94: D3B5002C 14B269E4
	v_fma_f32 v38, v38, s57, -v106                             // 000000005A9C: D1CB0026 85A87326
	v_fma_f32 v39, v39, s57, -v107                             // 000000005AA4: D1CB0027 85AC7327
	s_waitcnt lgkmcnt(10)                                      // 000000005AAC: BF8CCA7F
	v_mfma_f32_16x16x32_bf16 v[44:47], v[232:235], a[56:59], v[44:47]// 000000005AB0: D3B5002C 14B271E8
	ds_read_b64_tr_b16 v[96:97], v13 offset:20480              // 000000005AB8: D9C65000 6000000D
	ds_read_b64_tr_b16 v[98:99], v13 offset:20736              // 000000005AC0: D9C65100 6200000D
	v_mfma_f32_16x16x32_bf16 v[44:47], v[236:239], a[60:63], v[44:47]// 000000005AC8: D3B5002C 14B279EC
	v_fma_f32 v40, v40, s57, -v104                             // 000000005AD0: D1CB0028 85A07328
	v_fma_f32 v41, v41, s57, -v105                             // 000000005AD8: D1CB0029 85A47329
	v_cvt_pk_bf16_f32 v112, v116, v117                         // 000000005AE0: D2680070 0002EB74
	v_cvt_pk_bf16_f32 v113, v118, v119                         // 000000005AE8: D2680071 0002EF76
	s_waitcnt lgkmcnt(10)                                      // 000000005AF0: BF8CCA7F
	v_mfma_f32_16x16x32_bf16 v[44:47], v[240:243], v[248:251], v[44:47]// 000000005AF4: D3B5002C 04B3F1F0
	ds_read_b64_tr_b16 v[100:101], v13 offset:21504            // 000000005AFC: D9C65400 6400000D
	ds_read_b64_tr_b16 v[102:103], v13 offset:21760            // 000000005B04: D9C65500 6600000D
	v_mfma_f32_16x16x32_bf16 v[44:47], v[244:247], v[252:255], v[44:47]// 000000005B0C: D3B5002C 04B3F9F4
	v_fma_f32 v42, v42, s57, -v106                             // 000000005B14: D1CB002A 85A8732A
	v_fma_f32 v43, v43, s57, -v107                             // 000000005B1C: D1CB002B 85AC732B
	s_cmp_eq_i32 s90, 0                                        // 000000005B24: BF00805A
	s_cbranch_scc1 label_075F                                  // 000000005B28: BF85008F
	s_cmp_lt_i32 s74, 13                                       // 000000005B2C: BF048D4A
	s_cbranch_scc0 label_070A                                  // 000000005B30: BF84003D
	s_lshl_b32 s60, s74, 4                                     // 000000005B34: 8E3C844A
	v_sub_i32 v32, v24, s60                                    // 000000005B38: D29D0020 00007918
	s_mov_b32 s61, 0                                           // 000000005B40: BEBD0080
	v_add_i32 v33, v32, s61                                    // 000000005B44: D29C0021 00007B20
	v_cmp_gt_i32_e64 s[60:61], v33, 0                          // 000000005B4C: D0C4003C 00010121
	v_cmp_gt_i32_e64 s[92:93], v33, 1                          // 000000005B54: D0C4005C 00010321
	v_cndmask_b32_e64 v36, v36, v127, s[60:61]                 // 000000005B5C: D1000024 00F2FF24
	v_cndmask_b32_e64 v37, v37, v127, s[92:93]                 // 000000005B64: D1000025 0172FF25
	v_cmp_gt_i32_e64 s[60:61], v33, 2                          // 000000005B6C: D0C4003C 00010521
	v_cmp_gt_i32_e64 s[92:93], v33, 3                          // 000000005B74: D0C4005C 00010721
	v_cndmask_b32_e64 v38, v38, v127, s[60:61]                 // 000000005B7C: D1000026 00F2FF26
	v_cndmask_b32_e64 v39, v39, v127, s[92:93]                 // 000000005B84: D1000027 0172FF27
	s_mov_b32 s61, 64                                          // 000000005B8C: BEBD00C0
	v_add_i32 v33, v32, s61                                    // 000000005B90: D29C0021 00007B20
	v_cmp_gt_i32_e64 s[60:61], v33, 0                          // 000000005B98: D0C4003C 00010121
	v_cmp_gt_i32_e64 s[92:93], v33, 1                          // 000000005BA0: D0C4005C 00010321
	v_cndmask_b32_e64 v40, v40, v127, s[60:61]                 // 000000005BA8: D1000028 00F2FF28
	v_cndmask_b32_e64 v41, v41, v127, s[92:93]                 // 000000005BB0: D1000029 0172FF29
	v_cmp_gt_i32_e64 s[60:61], v33, 2                          // 000000005BB8: D0C4003C 00010521
	v_cmp_gt_i32_e64 s[92:93], v33, 3                          // 000000005BC0: D0C4005C 00010721
	v_cndmask_b32_e64 v42, v42, v127, s[60:61]                 // 000000005BC8: D100002A 00F2FF2A
	v_cndmask_b32_e64 v43, v43, v127, s[92:93]                 // 000000005BD0: D100002B 0172FF2B
	s_mov_b32 s61, 0x80                                        // 000000005BD8: BEBD00FF 00000080
	v_add_i32 v33, v32, s61                                    // 000000005BE0: D29C0021 00007B20
	v_cmp_gt_i32_e64 s[60:61], v33, 0                          // 000000005BE8: D0C4003C 00010121
	v_cmp_gt_i32_e64 s[92:93], v33, 1                          // 000000005BF0: D0C4005C 00010321
	v_cndmask_b32_e64 v44, v44, v127, s[60:61]                 // 000000005BF8: D100002C 00F2FF2C
	v_cndmask_b32_e64 v45, v45, v127, s[92:93]                 // 000000005C00: D100002D 0172FF2D
	v_cmp_gt_i32_e64 s[60:61], v33, 2                          // 000000005C08: D0C4003C 00010521
	v_cmp_gt_i32_e64 s[92:93], v33, 3                          // 000000005C10: D0C4005C 00010721
	v_cndmask_b32_e64 v46, v46, v127, s[60:61]                 // 000000005C18: D100002E 00F2FF2E
	v_cndmask_b32_e64 v47, v47, v127, s[92:93]                 // 000000005C20: D100002F 0172FF2F

0000000000005c28 <label_070A>:
	s_cmp_lt_i32 s64, 0xc0                                     // 000000005C28: BF04FF40 000000C0
	s_cbranch_scc0 label_075F                                  // 000000005C30: BF84004D
	s_cmp_le_i32 s64, 64                                       // 000000005C34: BF05C040
	s_cbranch_scc1 label_0716                                  // 000000005C38: BF850007
	s_cmp_le_i32 s64, 0x80                                     // 000000005C3C: BF05FF40 00000080
	s_cbranch_scc1 label_072E                                  // 000000005C44: BF850017
	s_cmp_lt_i32 s64, 0xc0                                     // 000000005C48: BF04FF40 000000C0
	s_cbranch_scc1 label_0746                                  // 000000005C50: BF85002C
	s_branch label_075F                                        // 000000005C54: BF820044

0000000000005c58 <label_0716>:
	s_mov_b32 s60, 0                                           // 000000005C58: BEBC0080
	v_and_b32_e32 v32, 15, v0                                  // 000000005C5C: 2640008F
	v_add_u32_e64 v32, v32, s60                                // 000000005C60: D1340020 00007920
	v_mul_i32_i24_e64 v33, s46, 16                             // 000000005C68: D1060021 0001202E
	v_add_u32_e32 v32, v32, v33                                // 000000005C70: 68404320
	v_cmp_lt_u32_e64 s[60:61], v32, s64                        // 000000005C74: D0C9003C 00008120
	s_nop 1                                                    // 000000005C7C: BF800001
	v_cndmask_b32_e64 v36, v127, v36, s[60:61]                 // 000000005C80: D1000024 00F2497F
	v_cndmask_b32_e64 v37, v127, v37, s[60:61]                 // 000000005C88: D1000025 00F24B7F
	v_cndmask_b32_e64 v38, v127, v38, s[60:61]                 // 000000005C90: D1000026 00F24D7F
	v_cndmask_b32_e64 v39, v127, v39, s[60:61]                 // 000000005C98: D1000027 00F24F7F
	s_branch label_0741                                        // 000000005CA0: BF820013

0000000000005ca4 <label_072E>:
	s_mov_b32 s60, 64                                          // 000000005CA4: BEBC00C0
	v_and_b32_e32 v32, 15, v0                                  // 000000005CA8: 2640008F
	v_add_u32_e64 v32, v32, s60                                // 000000005CAC: D1340020 00007920
	v_mul_i32_i24_e64 v33, s46, 16                             // 000000005CB4: D1060021 0001202E
	v_add_u32_e32 v32, v32, v33                                // 000000005CBC: 68404320
	v_cmp_lt_u32_e64 s[60:61], v32, s64                        // 000000005CC0: D0C9003C 00008120
	s_nop 1                                                    // 000000005CC8: BF800001
	v_cndmask_b32_e64 v40, v127, v40, s[60:61]                 // 000000005CCC: D1000028 00F2517F
	v_cndmask_b32_e64 v41, v127, v41, s[60:61]                 // 000000005CD4: D1000029 00F2537F
	v_cndmask_b32_e64 v42, v127, v42, s[60:61]                 // 000000005CDC: D100002A 00F2557F
	v_cndmask_b32_e64 v43, v127, v43, s[60:61]                 // 000000005CE4: D100002B 00F2577F
	s_branch label_075A                                        // 000000005CEC: BF820019

0000000000005cf0 <label_0741>:
	v_mov_b32_e32 v40, v127                                    // 000000005CF0: 7E50037F
	v_mov_b32_e32 v41, v127                                    // 000000005CF4: 7E52037F
	v_mov_b32_e32 v42, v127                                    // 000000005CF8: 7E54037F
	v_mov_b32_e32 v43, v127                                    // 000000005CFC: 7E56037F
	s_branch label_075A                                        // 000000005D00: BF820014

0000000000005d04 <label_0746>:
	s_mov_b32 s60, 0x80                                        // 000000005D04: BEBC00FF 00000080
	v_and_b32_e32 v32, 15, v0                                  // 000000005D0C: 2640008F
	v_add_u32_e64 v32, v32, s60                                // 000000005D10: D1340020 00007920
	v_mul_i32_i24_e64 v33, s46, 16                             // 000000005D18: D1060021 0001202E
	v_add_u32_e32 v32, v32, v33                                // 000000005D20: 68404320
	v_cmp_lt_u32_e64 s[60:61], v32, s64                        // 000000005D24: D0C9003C 00008120
	s_nop 1                                                    // 000000005D2C: BF800001
	v_cndmask_b32_e64 v44, v127, v44, s[60:61]                 // 000000005D30: D100002C 00F2597F
	v_cndmask_b32_e64 v45, v127, v45, s[60:61]                 // 000000005D38: D100002D 00F25B7F
	v_cndmask_b32_e64 v46, v127, v46, s[60:61]                 // 000000005D40: D100002E 00F25D7F
	v_cndmask_b32_e64 v47, v127, v47, s[60:61]                 // 000000005D48: D100002F 00F25F7F
	s_branch label_075F                                        // 000000005D50: BF820005

0000000000005d54 <label_075A>:
	v_mov_b32_e32 v44, v127                                    // 000000005D54: 7E58037F
	v_mov_b32_e32 v45, v127                                    // 000000005D58: 7E5A037F
	v_mov_b32_e32 v46, v127                                    // 000000005D5C: 7E5C037F
	v_mov_b32_e32 v47, v127                                    // 000000005D60: 7E5E037F
	s_branch label_075F                                        // 000000005D64: BF820000

0000000000005d68 <label_075F>:
	s_addk_i32 s74, 0x1                                        // 000000005D68: B74A0001
	s_waitcnt lgkmcnt(8)                                       // 000000005D6C: BF8CC87F
	v_mfma_f32_16x16x32_bf16 v[60:63], v[72:75], a[64:67], 0   // 000000005D70: D3B5003C 12028148
	v_exp_f32_e32 v36, v36                                     // 000000005D78: 7E484124
	v_exp_f32_e32 v37, v37                                     // 000000005D7C: 7E4A4125
	v_mfma_f32_16x16x32_bf16 v[60:63], v[76:79], a[68:71], v[60:63]// 000000005D80: D3B5003C 14F2894C
	v_exp_f32_e32 v38, v38                                     // 000000005D88: 7E4C4126
	v_exp_f32_e32 v39, v39                                     // 000000005D8C: 7E4E4127
	v_mfma_f32_16x16x32_bf16 v[60:63], v[80:83], a[72:75], v[60:63]// 000000005D90: D3B5003C 14F29150
	ds_read_b64_tr_b16 v[224:225], v13                         // 000000005D98: D9C60000 E000000D
	ds_read_b64_tr_b16 v[226:227], v13 offset:256              // 000000005DA0: D9C60100 E200000D
	ds_read_b64_tr_b16 v[228:229], v13 offset:1024             // 000000005DA8: D9C60400 E400000D
	ds_read_b64_tr_b16 v[230:231], v13 offset:1280             // 000000005DB0: D9C60500 E600000D
	v_mfma_f32_16x16x32_bf16 v[60:63], v[84:87], a[76:79], v[60:63]// 000000005DB8: D3B5003C 14F29954
	v_fma_f32 v44, v44, s57, -v104                             // 000000005DC0: D1CB002C 85A0732C
	v_fma_f32 v45, v45, s57, -v105                             // 000000005DC8: D1CB002D 85A4732D
	v_exp_f32_e32 v40, v40                                     // 000000005DD0: 7E504128
	v_exp_f32_e32 v41, v41                                     // 000000005DD4: 7E524129
	buffer_atomic_pk_add_bf16 v108, v7, s[32:35], 0 offen      // 000000005DD8: E1481000 80086C07
	v_mfma_f32_16x16x32_bf16 v[64:67], v[72:75], a[80:83], 0   // 000000005DE0: D3B50040 1202A148
	ds_read_b64_tr_b16 v[232:233], v13 offset:2048             // 000000005DE8: D9C60800 E800000D
	ds_read_b64_tr_b16 v[234:235], v13 offset:2304             // 000000005DF0: D9C60900 EA00000D
	ds_read_b64_tr_b16 v[236:237], v13 offset:3072             // 000000005DF8: D9C60C00 EC00000D
	ds_read_b64_tr_b16 v[238:239], v13 offset:3328             // 000000005E00: D9C60D00 EE00000D
	v_mfma_f32_16x16x32_bf16 v[64:67], v[76:79], a[84:87], v[64:67]// 000000005E08: D3B50040 1502A94C
	v_fma_f32 v46, v46, s57, -v106                             // 000000005E10: D1CB002E 85A8732E
	v_fma_f32 v47, v47, s57, -v107                             // 000000005E18: D1CB002F 85AC732F
	v_exp_f32_e32 v42, v42                                     // 000000005E20: 7E54412A
	v_exp_f32_e32 v43, v43                                     // 000000005E24: 7E56412B
	v_mfma_f32_16x16x32_bf16 v[64:67], v[80:83], a[88:91], v[64:67]// 000000005E28: D3B50040 1502B150
	v_exp_f32_e32 v44, v44                                     // 000000005E30: 7E58412C
	v_exp_f32_e32 v45, v45                                     // 000000005E34: 7E5A412D
	v_mfma_f32_16x16x32_bf16 v[64:67], v[84:87], a[92:95], v[64:67]// 000000005E38: D3B50040 1502B954
	v_cvt_pk_bf16_f32 v120, v36, v37                           // 000000005E40: D2680078 00024B24
	v_cvt_pk_bf16_f32 v121, v38, v39                           // 000000005E48: D2680079 00024F26
	v_cvt_pk_bf16_f32 v122, v40, v41                           // 000000005E50: D268007A 00025328
	v_cvt_pk_bf16_f32 v123, v42, v43                           // 000000005E58: D268007B 0002572A
	v_mfma_f32_16x16x32_bf16 v[68:71], v[72:75], a[96:99], 0   // 000000005E60: D3B50044 1202C148
	v_exp_f32_e32 v46, v46                                     // 000000005E68: 7E5C412E
	v_exp_f32_e32 v47, v47                                     // 000000005E6C: 7E5E412F
	v_mfma_f32_16x16x32_bf16 v[68:71], v[76:79], a[100:103], v[68:71]// 000000005E70: D3B50044 1512C94C
	v_permlane16_swap_b32_e32 v120, v122                       // 000000005E78: 7EF0B37A
	v_permlane16_swap_b32_e32 v121, v123                       // 000000005E7C: 7EF2B37B
	v_mfma_f32_16x16x32_bf16 v[68:71], v[80:83], a[104:107], v[68:71]// 000000005E80: D3B50044 1512D150
	ds_read_b64_tr_b16 v[240:241], v13 offset:4096             // 000000005E88: D9C61000 F000000D
	ds_read_b64_tr_b16 v[242:243], v13 offset:4352             // 000000005E90: D9C61100 F200000D
	ds_read_b64_tr_b16 v[244:245], v13 offset:5120             // 000000005E98: D9C61400 F400000D
	ds_read_b64_tr_b16 v[246:247], v13 offset:5376             // 000000005EA0: D9C61500 F600000D
	v_mfma_f32_16x16x32_bf16 v[68:71], v[84:87], a[108:111], v[68:71]// 000000005EA8: D3B50044 1512D954
	v_cvt_pk_bf16_f32 v124, v44, v45                           // 000000005EB0: D268007C 00025B2C
	v_cvt_pk_bf16_f32 v125, v46, v47                           // 000000005EB8: D268007D 00025F2E
	buffer_atomic_pk_add_bf16 v109, v7, s[32:35], 0 offen offset:768// 000000005EC0: E1481300 80086D07
	s_waitcnt lgkmcnt(12)                                      // 000000005EC8: BF8CCC7F
	v_mfma_f32_32x32x16_bf16 v[128:143], v[88:91], v[120:123], v[128:143]// 000000005ECC: D3B70080 0602F158
	ds_read_b64_tr_b16 a[0:1], v19                             // 000000005ED4: DBC60000 00000013
	ds_read_b64_tr_b16 a[2:3], v19 offset:256                  // 000000005EDC: DBC60100 02000013
	ds_read_b64_tr_b16 a[4:5], v19 offset:12288                // 000000005EE4: DBC63000 04000013
	ds_read_b64_tr_b16 a[6:7], v19 offset:12544                // 000000005EEC: DBC63100 06000013
	ds_read_b64_tr_b16 a[8:9], v19 offset:24576                // 000000005EF4: DBC66000 08000013
	buffer_atomic_pk_add_bf16 v110, v8, s[32:35], 0 offen      // 000000005EFC: E1481000 80086E08
	v_mfma_f32_32x32x16_bf16 v[144:159], v[92:95], v[120:123], v[144:159]// 000000005F04: D3B70090 0642F15C
	v_subrev_f32_dpp v60, v126, v60 quad_perm:[0,0,0,0] row_mask:0xf bank_mask:0xf// 000000005F0C: 067878FA FF00007E
	v_subrev_f32_dpp v61, v126, v61 quad_perm:[1,1,1,1] row_mask:0xf bank_mask:0xf// 000000005F14: 067A7AFA FF00557E
	v_subrev_f32_dpp v62, v126, v62 quad_perm:[2,2,2,2] row_mask:0xf bank_mask:0xf// 000000005F1C: 067C7CFA FF00AA7E
	v_subrev_f32_dpp v63, v126, v63 quad_perm:[3,3,3,3] row_mask:0xf bank_mask:0xf// 000000005F24: 067E7EFA FF00FF7E
	v_subrev_f32_dpp v64, v126, v64 quad_perm:[0,0,0,0] row_mask:0xf bank_mask:0xf// 000000005F2C: 068080FA FF00007E
	v_subrev_f32_dpp v65, v126, v65 quad_perm:[1,1,1,1] row_mask:0xf bank_mask:0xf// 000000005F34: 068282FA FF00557E
	v_subrev_f32_dpp v66, v126, v66 quad_perm:[2,2,2,2] row_mask:0xf bank_mask:0xf// 000000005F3C: 068484FA FF00AA7E
	v_subrev_f32_dpp v67, v126, v67 quad_perm:[3,3,3,3] row_mask:0xf bank_mask:0xf// 000000005F44: 068686FA FF00FF7E
	v_mul_f32_e32 v60, v36, v60                                // 000000005F4C: 0A787924
	v_mul_f32_e32 v61, v37, v61                                // 000000005F50: 0A7A7B25
	v_mul_f32_e32 v62, v38, v62                                // 000000005F54: 0A7C7D26
	v_mul_f32_e32 v63, v39, v63                                // 000000005F58: 0A7E7F27
	v_mfma_f32_32x32x16_bf16 v[160:175], v[96:99], v[120:123], v[160:175]// 000000005F5C: D3B700A0 0682F160
	ds_read_b64_tr_b16 a[10:11], v19 offset:24832              // 000000005F64: DBC66100 0A000013
	ds_read_b64_tr_b16 a[12:13], v19 offset:36864              // 000000005F6C: DBC69000 0C000013
	ds_read_b64_tr_b16 a[14:15], v19 offset:37120              // 000000005F74: DBC69100 0E000013
	ds_read_b64_tr_b16 a[16:17], v19 offset:49152              // 000000005F7C: DBC6C000 10000013
	ds_read_b64_tr_b16 a[18:19], v19 offset:49408              // 000000005F84: DBC6C100 12000013
	ds_read_b32 v104, v16 offset:38144                         // 000000005F8C: D86C9500 68000010
	v_mfma_f32_32x32x16_bf16 v[176:191], v[100:103], v[120:123], v[176:191]// 000000005F94: D3B700B0 06C2F164
	v_mul_f32_e32 v64, v40, v64                                // 000000005F9C: 0A808128
	v_mul_f32_e32 v65, v41, v65                                // 000000005FA0: 0A828329
	v_mul_f32_e32 v66, v42, v66                                // 000000005FA4: 0A84852A
	v_mul_f32_e32 v67, v43, v67                                // 000000005FA8: 0A86872B
	v_permlane16_swap_b32_e32 v88, v90                         // 000000005FAC: 7EB0B35A
	v_permlane16_swap_b32_e32 v89, v91                         // 000000005FB0: 7EB2B35B
	v_cvt_pk_bf16_f32 v60, v60, v61                            // 000000005FB4: D268003C 00027B3C
	v_cvt_pk_bf16_f32 v61, v62, v63                            // 000000005FBC: D268003D 00027F3E
	v_cvt_pk_bf16_f32 v62, v64, v65                            // 000000005FC4: D268003E 00028340
	v_cvt_pk_bf16_f32 v63, v66, v67                            // 000000005FCC: D268003F 00028742
	v_permlane16_swap_b32_e32 v92, v94                         // 000000005FD4: 7EB8B35E
	v_permlane16_swap_b32_e32 v93, v95                         // 000000005FD8: 7EBAB35F
	v_mfma_f32_16x16x16_bf16 v[192:195], v[88:89], v[124:125], v[192:195]// 000000005FDC: D3E100C0 0702F958
	buffer_atomic_pk_add_bf16 v111, v8, s[32:35], 0 offen offset:768// 000000005FE4: E1481300 80086F08
	ds_write_b64 v15, v[60:61] offset:30720                    // 000000005FEC: D89A7800 00003C0F
	ds_write_b64 v15, v[62:63] offset:33024                    // 000000005FF4: D89A8100 00003E0F
	v_mfma_f32_16x16x16_bf16 v[196:199], v[90:91], v[124:125], v[196:199]// 000000005FFC: D3E100C4 0712F95A
	v_permlane16_swap_b32_e32 v96, v98                         // 000000006004: 7EC0B362
	v_permlane16_swap_b32_e32 v97, v99                         // 000000006008: 7EC2B363
	v_subrev_f32_dpp v68, v126, v68 quad_perm:[0,0,0,0] row_mask:0xf bank_mask:0xf// 00000000600C: 068888FA FF00007E
	v_subrev_f32_dpp v69, v126, v69 quad_perm:[1,1,1,1] row_mask:0xf bank_mask:0xf// 000000006014: 068A8AFA FF00557E
	v_mfma_f32_16x16x16_bf16 v[200:203], v[92:93], v[124:125], v[200:203]// 00000000601C: D3E100C8 0722F95C
	v_permlane16_swap_b32_e32 v100, v102                       // 000000006024: 7EC8B366
	v_permlane16_swap_b32_e32 v101, v103                       // 000000006028: 7ECAB367
	v_subrev_f32_dpp v70, v126, v70 quad_perm:[2,2,2,2] row_mask:0xf bank_mask:0xf// 00000000602C: 068C8CFA FF00AA7E
	v_subrev_f32_dpp v71, v126, v71 quad_perm:[3,3,3,3] row_mask:0xf bank_mask:0xf// 000000006034: 068E8EFA FF00FF7E
	v_mfma_f32_16x16x16_bf16 v[204:207], v[94:95], v[124:125], v[204:207]// 00000000603C: D3E100CC 0732F95E
	v_permlane16_swap_b32_e32 v60, v62                         // 000000006044: 7E78B33E
	v_permlane16_swap_b32_e32 v61, v63                         // 000000006048: 7E7AB33F
	v_mfma_f32_16x16x16_bf16 v[208:211], v[96:97], v[124:125], v[208:211]// 00000000604C: D3E100D0 0742F960
	ds_read_b64_tr_b16 a[20:21], v19 offset:61440              // 000000006054: DBC6F000 14000013
	ds_read_b64_tr_b16 a[22:23], v19 offset:61696              // 00000000605C: DBC6F100 16000013
	ds_read_b64_tr_b16 a[24:25], v20                           // 000000006064: DBC60000 18000014
	v_mfma_f32_16x16x16_bf16 v[212:215], v[98:99], v[124:125], v[212:215]// 00000000606C: D3E100D4 0752F962
	v_mul_f32_e32 v68, v44, v68                                // 000000006074: 0A88892C
	v_mul_f32_e32 v69, v45, v69                                // 000000006078: 0A8A8B2D
	v_mul_f32_e32 v70, v46, v70                                // 00000000607C: 0A8C8D2E
	v_mfma_f32_16x16x16_bf16 v[216:219], v[100:101], v[124:125], v[216:219]// 000000006080: D3E100D8 0762F964
	ds_read_b32 v126, v16 offset:38400                         // 000000006088: D86C9600 7E000010
	ds_read_b64_tr_b16 a[26:27], v20 offset:256                // 000000006090: DBC60100 1A000014
	ds_read_b64_tr_b16 a[28:29], v20 offset:12288              // 000000006098: DBC63000 1C000014
	v_mfma_f32_16x16x16_bf16 v[220:223], v[102:103], v[124:125], v[220:223]// 0000000060A0: D3E100DC 0772F966
	v_mul_f32_e32 v71, v47, v71                                // 0000000060A8: 0A8E8F2F
	v_cvt_pk_bf16_f32 v64, v68, v69                            // 0000000060AC: D2680040 00028B44
	v_cvt_pk_bf16_f32 v65, v70, v71                            // 0000000060B4: D2680041 00028F46
	s_waitcnt lgkmcnt(8)                                       // 0000000060BC: BF8CC87F
	v_mfma_f32_32x32x16_bf16 a[112:127], v[224:227], v[60:63], a[112:127]// 0000000060C0: D3B78070 05C279E0
	ds_read_b64_tr_b16 a[30:31], v20 offset:12544              // 0000000060C8: DBC63100 1E000014
	ds_write_b64 v15, v[64:65] offset:35328                    // 0000000060D0: D89A8A00 0000400F
	ds_read_b64_tr_b16 a[32:33], v20 offset:24576              // 0000000060D8: DBC66000 20000014
	ds_read_b64_tr_b16 a[34:35], v20 offset:24832              // 0000000060E0: DBC66100 22000014
	v_mfma_f32_32x32x16_bf16 a[128:143], v[228:231], v[60:63], a[128:143]// 0000000060E8: D3B78080 060279E4
	v_cmp_eq_f32_e32 vcc, v127, v104                           // 0000000060F0: 7C84D17F
	v_cndmask_b32_e64 v104, v104, 0, vcc                       // 0000000060F4: D1000068 01A90168
	v_mul_f32_e32 v104, s48, v104                              // 0000000060FC: 0AD0D030
	buffer_atomic_pk_add_bf16 v112, v9, s[32:35], 0 offen      // 000000006100: E1481000 80087009
	v_mfma_f32_32x32x16_bf16 a[144:159], v[232:235], v[60:63], a[144:159]// 000000006108: D3B78090 064279E8
	ds_read_b64_tr_b16 a[36:37], v20 offset:36864              // 000000006110: DBC69000 24000014
	ds_read_b64_tr_b16 a[38:39], v20 offset:37120              // 000000006118: DBC69100 26000014
	ds_read_b64_tr_b16 a[40:41], v20 offset:49152              // 000000006120: DBC6C000 28000014
	ds_read_b64_tr_b16 a[42:43], v20 offset:49408              // 000000006128: DBC6C100 2A000014
	ds_read_b64_tr_b16 a[44:45], v20 offset:61440              // 000000006130: DBC6F000 2C000014
	ds_read_b64_tr_b16 a[46:47], v20 offset:61696              // 000000006138: DBC6F100 2E000014
	v_mfma_f32_32x32x16_bf16 a[160:175], v[236:239], v[60:63], a[160:175]// 000000006140: D3B780A0 068279EC
	.long 0x7fc0b3e2                                           // 000000006148: 7FC0B3E2
	.long 0x7fc2b3e3                                           // 00000000614C: 7FC2B3E3
	s_waitcnt lgkmcnt(8)                                       // 000000006150: BF8CC87F
	s_barrier                                                  // 000000006154: BF8A0000
	v_mfma_f32_32x32x16_bf16 a[176:191], v[240:243], v[60:63], a[176:191]// 000000006158: D3B780B0 06C279F0
	ds_read_b64_tr_b16 v[36:37], v14 offset:30720              // 000000006160: D9C67800 2400000E
	ds_read_b64_tr_b16 v[38:39], v14 offset:30752              // 000000006168: D9C67820 2600000E
	ds_read_b64_tr_b16 v[40:41], v14 offset:31872              // 000000006170: D9C67C80 2800000E
	ds_read_b64_tr_b16 v[42:43], v14 offset:31904              // 000000006178: D9C67CA0 2A00000E
	ds_read_b64_tr_b16 v[44:45], v14 offset:33024              // 000000006180: D9C68100 2C00000E
	ds_read_b64_tr_b16 v[46:47], v14 offset:33056              // 000000006188: D9C68120 2E00000E
	v_mfma_f32_32x32x16_bf16 a[192:207], v[244:247], v[60:63], a[192:207]// 000000006190: D3B780C0 070279F4
	.long 0x7fc8b3e6                                           // 000000006198: 7FC8B3E6
	.long 0x7fcab3e7                                           // 00000000619C: 7FCAB3E7
	v_mov_b32_dpp v107, v104 quad_perm:[3,3,3,3] row_mask:0xf bank_mask:0xf// 0000000061A0: 7ED602FA FF00FF68
	v_mov_b32_dpp v106, v104 quad_perm:[2,2,2,2] row_mask:0xf bank_mask:0xf// 0000000061A8: 7ED402FA FF00AA68
	v_mfma_f32_16x16x16_bf16 a[208:211], v[224:225], v[64:65], a[208:211]// 0000000061B0: D3E180D0 074281E0
	ds_read_b64_tr_b16 v[48:49], v14 offset:34176              // 0000000061B8: D9C68580 3000000E
	ds_read_b64_tr_b16 v[50:51], v14 offset:34208              // 0000000061C0: D9C685A0 3200000E
	ds_read_b64_tr_b16 v[52:53], v14 offset:35328              // 0000000061C8: D9C68A00 3400000E
	v_mfma_f32_16x16x16_bf16 a[212:215], v[226:227], v[64:65], a[212:215]// 0000000061D0: D3E180D4 075281E2
	.long 0x7fd0b3ea                                           // 0000000061D8: 7FD0B3EA
	.long 0x7fd2b3eb                                           // 0000000061DC: 7FD2B3EB
	v_mfma_f32_16x16x16_bf16 a[216:219], v[228:229], v[64:65], a[216:219]// 0000000061E0: D3E180D8 076281E4
	ds_read_b64_tr_b16 v[54:55], v14 offset:35360              // 0000000061E8: D9C68A20 3600000E
	ds_read_b64_tr_b16 v[56:57], v14 offset:36480              // 0000000061F0: D9C68E80 3800000E
	ds_read_b64_tr_b16 v[58:59], v14 offset:36512              // 0000000061F8: D9C68EA0 3A00000E
	v_mfma_f32_16x16x16_bf16 a[220:223], v[230:231], v[64:65], a[220:223]// 000000006200: D3E180DC 077281E6
	v_permlane16_swap_b32_e32 v236, v238                       // 000000006208: 7FD8B3EE
	v_permlane16_swap_b32_e32 v237, v239                       // 00000000620C: 7FDAB3EF
	v_mfma_f32_16x16x16_bf16 a[224:227], v[232:233], v[64:65], a[224:227]// 000000006210: D3E180E0 078281E8
	ds_read_b64_tr_b16 a[48:49], v21                           // 000000006218: DBC60000 30000015
	ds_read_b64_tr_b16 a[50:51], v21 offset:256                // 000000006220: DBC60100 32000015
	ds_read_b64_tr_b16 a[52:53], v21 offset:12288              // 000000006228: DBC63000 34000015
	v_mfma_f32_16x16x16_bf16 a[228:231], v[234:235], v[64:65], a[228:231]// 000000006230: D3E180E4 079281EA
	v_permlane16_swap_b32_e32 v240, v242                       // 000000006238: 7FE0B3F2
	v_permlane16_swap_b32_e32 v241, v243                       // 00000000623C: 7FE2B3F3
	v_mfma_f32_16x16x16_bf16 a[232:235], v[236:237], v[64:65], a[232:235]// 000000006240: D3E180E8 07A281EC
	ds_read_b64_tr_b16 a[54:55], v21 offset:12544              // 000000006248: DBC63100 36000015
	ds_read_b64_tr_b16 a[56:57], v21 offset:24576              // 000000006250: DBC66000 38000015
	ds_read_b64_tr_b16 a[58:59], v21 offset:24832              // 000000006258: DBC66100 3A000015
	v_mfma_f32_16x16x16_bf16 a[236:239], v[238:239], v[64:65], a[236:239]// 000000006260: D3E180EC 07B281EE
	v_permlane16_swap_b32_e32 v244, v246                       // 000000006268: 7FE8B3F6
	v_permlane16_swap_b32_e32 v245, v247                       // 00000000626C: 7FEAB3F7
	v_mfma_f32_16x16x16_bf16 a[240:243], v[240:241], v[64:65], a[240:243]// 000000006270: D3E180F0 07C281F0
	ds_read_b64_tr_b16 a[60:61], v21 offset:36864              // 000000006278: DBC69000 3C000015
	ds_read_b64_tr_b16 a[62:63], v21 offset:37120              // 000000006280: DBC69100 3E000015
	ds_read_b64_tr_b16 v[248:249], v21 offset:49152            // 000000006288: D9C6C000 F8000015
	v_mfma_f32_16x16x16_bf16 a[244:247], v[242:243], v[64:65], a[244:247]// 000000006290: D3E180F4 07D281F2
	v_mov_b32_dpp v105, v104 quad_perm:[1,1,1,1] row_mask:0xf bank_mask:0xf// 000000006298: 7ED202FA FF005568
	buffer_atomic_pk_add_bf16 v113, v9, s[32:35], 0 offen offset:768// 0000000062A0: E1481300 80087109
	v_mfma_f32_16x16x16_bf16 a[248:251], v[244:245], v[64:65], a[248:251]// 0000000062A8: D3E180F8 07E281F4
	ds_read_b64_tr_b16 v[250:251], v21 offset:49408            // 0000000062B0: D9C6C100 FA000015
	ds_read_b64_tr_b16 v[252:253], v21 offset:61440            // 0000000062B8: D9C6F000 FC000015
	ds_read_b64_tr_b16 v[254:255], v21 offset:61696            // 0000000062C0: D9C6F100 FE000015
	v_mfma_f32_16x16x16_bf16 a[252:255], v[246:247], v[64:65], a[252:255]// 0000000062C8: D3E180FC 07F281F6
	v_mov_b32_dpp v104, v104 quad_perm:[0,0,0,0] row_mask:0xf bank_mask:0xf// 0000000062D0: 7ED002FA FF000068
	s_waitcnt vmcnt(6) lgkmcnt(6)                              // 0000000062D8: BF8C0676
	s_barrier                                                  // 0000000062DC: BF8A0000
	v_mfma_f32_16x16x32_bf16 v[108:111], a[0:3], v[36:39], 0   // 0000000062E0: D3B5006C 0A024900
	ds_read_b128 v[224:227], v12 offset:6144                   // 0000000062E8: D9FE1800 E000000C
	ds_read_b128 v[228:231], v12 offset:7168                   // 0000000062F0: D9FE1C00 E400000C
	v_mfma_f32_16x16x32_bf16 v[108:111], a[4:7], v[40:43], v[108:111]// 0000000062F8: D3B5006C 0DB25104
	s_mov_b32 m0, s81                                          // 000000006300: BEFC0051
	buffer_load_dwordx4 v1, s[8:11], 0 idxen lds               // 000000006304: E05D2000 80020001
	v_mfma_f32_16x16x32_bf16 v[108:111], a[8:11], v[44:47], v[108:111]// 00000000630C: D3B5006C 0DB25908
	ds_read_b128 v[232:235], v12 offset:8192                   // 000000006314: D9FE2000 E800000C
	ds_read_b128 v[236:239], v12 offset:9216                   // 00000000631C: D9FE2400 EC00000C
	v_mfma_f32_16x16x32_bf16 v[108:111], a[12:15], v[48:51], v[108:111]// 000000006324: D3B5006C 0DB2610C
	s_mov_b32 m0, s82                                          // 00000000632C: BEFC0052
	buffer_load_dword v2, s[8:11], 0 idxen lds                 // 000000006330: E0512000 80020002
	v_mfma_f32_16x16x32_bf16 v[108:111], a[16:19], v[52:55], v[108:111]// 000000006338: D3B5006C 0DB26910
	ds_read_b128 v[240:243], v12 offset:10240                  // 000000006340: D9FE2800 F000000C
	ds_read_b128 v[244:247], v12 offset:11264                  // 000000006348: D9FE2C00 F400000C
	v_mfma_f32_16x16x32_bf16 v[108:111], a[20:23], v[56:59], v[108:111]// 000000006350: D3B5006C 0DB27114
	s_mov_b32 m0, s83                                          // 000000006358: BEFC0053
	buffer_load_dword v3, s[8:11], 0 idxen lds                 // 00000000635C: E0512000 80020003
	v_mfma_f32_16x16x32_bf16 v[112:115], a[24:27], v[36:39], 0 // 000000006364: D3B50070 0A024918
	ds_read_b128 a[0:3], v17                                   // 00000000636C: DBFE0000 00000011
	ds_read_b128 a[4:7], v17 offset:1024                       // 000000006374: DBFE0400 04000011
	v_mfma_f32_16x16x32_bf16 v[112:115], a[28:31], v[40:43], v[112:115]// 00000000637C: D3B50070 0DC2511C
	s_mov_b32 m0, s99                                          // 000000006384: BEFC0063
	buffer_load_dwordx4 v4, s[20:23], 0 idxen lds              // 000000006388: E05D2000 80050004
	v_mfma_f32_16x16x32_bf16 v[112:115], a[32:35], v[44:47], v[112:115]// 000000006390: D3B50070 0DC25920
	ds_read_b128 a[8:11], v17 offset:2048                      // 000000006398: DBFE0800 08000011
	ds_read_b128 a[12:15], v17 offset:3072                     // 0000000063A0: DBFE0C00 0C000011
	v_mfma_f32_16x16x32_bf16 v[112:115], a[36:39], v[48:51], v[112:115]// 0000000063A8: D3B50070 0DC26124
	v_mul_f32_e32 v108, s47, v108                              // 0000000063B0: 0AD8D82F
	v_mul_f32_e32 v109, s47, v109                              // 0000000063B4: 0ADADA2F
	s_mov_b32 m0, s78                                          // 0000000063B8: BEFC004E
	buffer_load_dword v11, s[24:27], 0 idxen lds               // 0000000063BC: E0512000 8006000B
	v_mfma_f32_16x16x32_bf16 v[112:115], a[40:43], v[52:55], v[112:115]// 0000000063C4: D3B50070 0DC26928
	ds_read_b128 a[16:19], v17 offset:4096                     // 0000000063CC: DBFE1000 10000011
	ds_read_b128 a[20:23], v17 offset:5120                     // 0000000063D4: DBFE1400 14000011
	v_mfma_f32_16x16x32_bf16 v[112:115], a[44:47], v[56:59], v[112:115]// 0000000063DC: D3B50070 0DC2712C
	s_add_u32 s60, 64, s59                                     // 0000000063E4: 803C3BC0
	s_cmp_lt_u32 s60, s58                                      // 0000000063E8: BF0A3A3C
	s_cselect_b32 s68, s68, 0                                  // 0000000063EC: 85448044
	s_cselect_b32 s98, s98, 0                                  // 0000000063F0: 85628062
	s_cselect_b32 s69, s69, 0                                  // 0000000063F4: 85458045
	v_mfma_f32_16x16x32_bf16 v[116:119], a[48:51], v[36:39], 0 // 0000000063F8: D3B50074 0A024930
	ds_read_b128 a[24:27], v17 offset:24576                    // 000000006400: DBFE6000 18000011
	ds_read_b128 a[28:31], v17 offset:25600                    // 000000006408: DBFE6400 1C000011
	v_mfma_f32_16x16x32_bf16 v[116:119], a[52:55], v[40:43], v[116:119]// 000000006410: D3B50074 0DD25134
	v_add_u32_e32 v1, s68, v1                                  // 000000006418: 68020244
	v_add_u32_e32 v2, s68, v2                                  // 00000000641C: 68040444
	v_add_u32_e32 v3, s68, v3                                  // 000000006420: 68060644
	v_add_u32_e32 v4, s98, v4                                  // 000000006424: 68080862
	v_add_u32_e32 v11, s69, v11                                // 000000006428: 68161645
	s_waitcnt lgkmcnt(14)                                      // 00000000642C: BF8CCE7F
	v_mfma_f32_16x16x32_bf16 v[116:119], a[56:59], v[44:47], v[116:119]// 000000006430: D3B50074 0DD25938
	ds_read_b128 a[32:35], v17 offset:26624                    // 000000006438: DBFE6800 20000011
	ds_read_b128 a[36:39], v17 offset:27648                    // 000000006440: DBFE6C00 24000011
	v_mfma_f32_16x16x32_bf16 v[116:119], a[60:63], v[48:51], v[116:119]// 000000006448: D3B50074 0DD2613C
	v_mul_f32_e32 v110, s47, v110                              // 000000006450: 0ADCDC2F
	v_mul_f32_e32 v111, s47, v111                              // 000000006454: 0ADEDE2F
	s_cmp_ge_u32 s59, s73                                      // 000000006458: BF09493B
	s_cselect_b32 s66, s67, s66                                // 00000000645C: 85424243
	v_mfma_f32_16x16x32_bf16 v[116:119], v[248:251], v[52:55], v[116:119]// 000000006460: D3B50074 05D269F8
	ds_read_b128 a[40:43], v17 offset:28672                    // 000000006468: DBFE7000 28000011
	ds_read_b128 a[44:47], v17 offset:29696                    // 000000006470: DBFE7400 2C000011
	v_mfma_f32_16x16x32_bf16 v[116:119], v[252:255], v[56:59], v[116:119]// 000000006478: D3B50074 05D271FC
	s_addk_i32 s59, 0x10                                       // 000000006480: B73B0010
	v_mul_f32_e32 v112, s47, v112                              // 000000006484: 0AE0E02F
	v_mul_f32_e32 v113, s47, v113                              // 000000006488: 0AE2E22F
	s_cmp_lt_i32 s59, s58                                      // 00000000648C: BF043A3B
	s_cbranch_scc0 label_0ED1                                  // 000000006490: BF84059D
	s_waitcnt lgkmcnt(2)                                       // 000000006494: BF8CC27F
	v_mfma_f32_16x16x32_bf16 v[36:39], v[224:227], a[0:3], 0   // 000000006498: D3B50024 120201E0
	ds_read_b128 a[48:51], v17 offset:49152                    // 0000000064A0: DBFEC000 30000011
	ds_read_b128 a[52:55], v17 offset:50176                    // 0000000064A8: DBFEC400 34000011
	v_mfma_f32_16x16x32_bf16 v[36:39], v[228:231], a[4:7], v[36:39]// 0000000064B0: D3B50024 149209E4
	v_add_u32_e32 v7, s66, v7                                  // 0000000064B8: 680E0E42
	v_add_u32_e32 v8, s66, v8                                  // 0000000064BC: 68101042
	v_add_u32_e32 v9, s66, v9                                  // 0000000064C0: 68121242
	v_mfma_f32_16x16x32_bf16 v[36:39], v[232:235], a[8:11], v[36:39]// 0000000064C4: D3B50024 149211E8
	ds_read_b128 a[56:59], v17 offset:51200                    // 0000000064CC: DBFEC800 38000011
	ds_read_b128 a[60:63], v17 offset:52224                    // 0000000064D4: DBFECC00 3C000011
	v_mfma_f32_16x16x32_bf16 v[36:39], v[236:239], a[12:15], v[36:39]// 0000000064DC: D3B50024 149219EC
	v_cvt_pk_bf16_f32 v108, v108, v109                         // 0000000064E4: D268006C 0002DB6C
	v_cvt_pk_bf16_f32 v109, v110, v111                         // 0000000064EC: D268006D 0002DF6E
	v_mfma_f32_16x16x32_bf16 v[36:39], v[240:243], a[16:19], v[36:39]// 0000000064F4: D3B50024 149221F0
	ds_read_b128 v[248:251], v17 offset:53248                  // 0000000064FC: D9FED000 F8000011
	ds_read_b128 v[252:255], v17 offset:54272                  // 000000006504: D9FED400 FC000011
	v_mfma_f32_16x16x32_bf16 v[36:39], v[244:247], a[20:23], v[36:39]// 00000000650C: D3B50024 149229F4
	v_mul_f32_e32 v114, s47, v114                              // 000000006514: 0AE4E42F
	v_mul_f32_e32 v115, s47, v115                              // 000000006518: 0AE6E62F
	v_mfma_f32_16x16x32_bf16 v[40:43], v[224:227], a[24:27], 0 // 00000000651C: D3B50028 120231E0
	ds_read_b128 v[72:75], v12 offset:22528                    // 000000006524: D9FE5800 4800000C
	ds_read_b128 v[76:79], v12 offset:23552                    // 00000000652C: D9FE5C00 4C00000C
	v_mfma_f32_16x16x32_bf16 v[40:43], v[228:231], a[28:31], v[40:43]// 000000006534: D3B50028 14A239E4
	v_mul_f32_e32 v116, s47, v116                              // 00000000653C: 0AE8E82F
	v_mul_f32_e32 v117, s47, v117                              // 000000006540: 0AEAEA2F
	v_mfma_f32_16x16x32_bf16 v[40:43], v[232:235], a[32:35], v[40:43]// 000000006544: D3B50028 14A241E8
	ds_read_b128 v[80:83], v12 offset:24576                    // 00000000654C: D9FE6000 5000000C
	ds_read_b128 v[84:87], v12 offset:25600                    // 000000006554: D9FE6400 5400000C
	v_mfma_f32_16x16x32_bf16 v[40:43], v[236:239], a[36:39], v[40:43]// 00000000655C: D3B50028 14A249EC
	v_mul_f32_e32 v118, s47, v118                              // 000000006564: 0AECEC2F
	v_mul_f32_e32 v119, s47, v119                              // 000000006568: 0AEEEE2F
	v_cvt_pk_bf16_f32 v110, v112, v113                         // 00000000656C: D268006E 0002E370
	v_cvt_pk_bf16_f32 v111, v114, v115                         // 000000006574: D268006F 0002E772
	s_waitcnt lgkmcnt(10)                                      // 00000000657C: BF8CCA7F
	v_mfma_f32_16x16x32_bf16 v[40:43], v[240:243], a[40:43], v[40:43]// 000000006580: D3B50028 14A251F0
	ds_read_b64_tr_b16 v[88:89], v13 offset:22528              // 000000006588: D9C65800 5800000D
	ds_read_b64_tr_b16 v[90:91], v13 offset:22784              // 000000006590: D9C65900 5A00000D
	v_mfma_f32_16x16x32_bf16 v[40:43], v[244:247], a[44:47], v[40:43]// 000000006598: D3B50028 14A259F4
	v_fma_f32 v36, v36, s57, -v104                             // 0000000065A0: D1CB0024 85A07324
	v_fma_f32 v37, v37, s57, -v105                             // 0000000065A8: D1CB0025 85A47325
	s_waitcnt lgkmcnt(10)                                      // 0000000065B0: BF8CCA7F
	v_mfma_f32_16x16x32_bf16 v[44:47], v[224:227], a[48:51], 0 // 0000000065B4: D3B5002C 120261E0
	ds_read_b64_tr_b16 v[92:93], v13 offset:23552              // 0000000065BC: D9C65C00 5C00000D
	ds_read_b64_tr_b16 v[94:95], v13 offset:23808              // 0000000065C4: D9C65D00 5E00000D
	v_mfma_f32_16x16x32_bf16 v[44:47], v[228:231], a[52:55], v[44:47]// 0000000065CC: D3B5002C 14B269E4
	v_fma_f32 v38, v38, s57, -v106                             // 0000000065D4: D1CB0026 85A87326
	v_fma_f32 v39, v39, s57, -v107                             // 0000000065DC: D1CB0027 85AC7327
	s_waitcnt lgkmcnt(10)                                      // 0000000065E4: BF8CCA7F
	v_mfma_f32_16x16x32_bf16 v[44:47], v[232:235], a[56:59], v[44:47]// 0000000065E8: D3B5002C 14B271E8
	ds_read_b64_tr_b16 v[96:97], v13 offset:24576              // 0000000065F0: D9C66000 6000000D
	ds_read_b64_tr_b16 v[98:99], v13 offset:24832              // 0000000065F8: D9C66100 6200000D
	v_mfma_f32_16x16x32_bf16 v[44:47], v[236:239], a[60:63], v[44:47]// 000000006600: D3B5002C 14B279EC
	v_fma_f32 v40, v40, s57, -v104                             // 000000006608: D1CB0028 85A07328
	v_fma_f32 v41, v41, s57, -v105                             // 000000006610: D1CB0029 85A47329
	v_cvt_pk_bf16_f32 v112, v116, v117                         // 000000006618: D2680070 0002EB74
	v_cvt_pk_bf16_f32 v113, v118, v119                         // 000000006620: D2680071 0002EF76
	s_waitcnt lgkmcnt(10)                                      // 000000006628: BF8CCA7F
	v_mfma_f32_16x16x32_bf16 v[44:47], v[240:243], v[248:251], v[44:47]// 00000000662C: D3B5002C 04B3F1F0
	ds_read_b64_tr_b16 v[100:101], v13 offset:25600            // 000000006634: D9C66400 6400000D
	ds_read_b64_tr_b16 v[102:103], v13 offset:25856            // 00000000663C: D9C66500 6600000D
	v_mfma_f32_16x16x32_bf16 v[44:47], v[244:247], v[252:255], v[44:47]// 000000006644: D3B5002C 04B3F9F4
	v_fma_f32 v42, v42, s57, -v106                             // 00000000664C: D1CB002A 85A8732A
	v_fma_f32 v43, v43, s57, -v107                             // 000000006654: D1CB002B 85AC732B
	s_cmp_eq_i32 s90, 0                                        // 00000000665C: BF00805A
	s_cbranch_scc1 label_0A32                                  // 000000006660: BF85008F
	s_cmp_lt_i32 s74, 13                                       // 000000006664: BF048D4A
	s_cbranch_scc0 label_09DD                                  // 000000006668: BF84003D
	s_lshl_b32 s60, s74, 4                                     // 00000000666C: 8E3C844A
	v_sub_i32 v32, v24, s60                                    // 000000006670: D29D0020 00007918
	s_mov_b32 s61, 0                                           // 000000006678: BEBD0080
	v_add_i32 v33, v32, s61                                    // 00000000667C: D29C0021 00007B20
	v_cmp_gt_i32_e64 s[60:61], v33, 0                          // 000000006684: D0C4003C 00010121
	v_cmp_gt_i32_e64 s[92:93], v33, 1                          // 00000000668C: D0C4005C 00010321
	v_cndmask_b32_e64 v36, v36, v127, s[60:61]                 // 000000006694: D1000024 00F2FF24
	v_cndmask_b32_e64 v37, v37, v127, s[92:93]                 // 00000000669C: D1000025 0172FF25
	v_cmp_gt_i32_e64 s[60:61], v33, 2                          // 0000000066A4: D0C4003C 00010521
	v_cmp_gt_i32_e64 s[92:93], v33, 3                          // 0000000066AC: D0C4005C 00010721
	v_cndmask_b32_e64 v38, v38, v127, s[60:61]                 // 0000000066B4: D1000026 00F2FF26
	v_cndmask_b32_e64 v39, v39, v127, s[92:93]                 // 0000000066BC: D1000027 0172FF27
	s_mov_b32 s61, 64                                          // 0000000066C4: BEBD00C0
	v_add_i32 v33, v32, s61                                    // 0000000066C8: D29C0021 00007B20
	v_cmp_gt_i32_e64 s[60:61], v33, 0                          // 0000000066D0: D0C4003C 00010121
	v_cmp_gt_i32_e64 s[92:93], v33, 1                          // 0000000066D8: D0C4005C 00010321
	v_cndmask_b32_e64 v40, v40, v127, s[60:61]                 // 0000000066E0: D1000028 00F2FF28
	v_cndmask_b32_e64 v41, v41, v127, s[92:93]                 // 0000000066E8: D1000029 0172FF29
	v_cmp_gt_i32_e64 s[60:61], v33, 2                          // 0000000066F0: D0C4003C 00010521
	v_cmp_gt_i32_e64 s[92:93], v33, 3                          // 0000000066F8: D0C4005C 00010721
	v_cndmask_b32_e64 v42, v42, v127, s[60:61]                 // 000000006700: D100002A 00F2FF2A
	v_cndmask_b32_e64 v43, v43, v127, s[92:93]                 // 000000006708: D100002B 0172FF2B
	s_mov_b32 s61, 0x80                                        // 000000006710: BEBD00FF 00000080
	v_add_i32 v33, v32, s61                                    // 000000006718: D29C0021 00007B20
	v_cmp_gt_i32_e64 s[60:61], v33, 0                          // 000000006720: D0C4003C 00010121
	v_cmp_gt_i32_e64 s[92:93], v33, 1                          // 000000006728: D0C4005C 00010321
	v_cndmask_b32_e64 v44, v44, v127, s[60:61]                 // 000000006730: D100002C 00F2FF2C
	v_cndmask_b32_e64 v45, v45, v127, s[92:93]                 // 000000006738: D100002D 0172FF2D
	v_cmp_gt_i32_e64 s[60:61], v33, 2                          // 000000006740: D0C4003C 00010521
	v_cmp_gt_i32_e64 s[92:93], v33, 3                          // 000000006748: D0C4005C 00010721
	v_cndmask_b32_e64 v46, v46, v127, s[60:61]                 // 000000006750: D100002E 00F2FF2E
	v_cndmask_b32_e64 v47, v47, v127, s[92:93]                 // 000000006758: D100002F 0172FF2F

0000000000006760 <label_09DD>:
	s_cmp_lt_i32 s64, 0xc0                                     // 000000006760: BF04FF40 000000C0
	s_cbranch_scc0 label_0A32                                  // 000000006768: BF84004D
	s_cmp_le_i32 s64, 64                                       // 00000000676C: BF05C040
	s_cbranch_scc1 label_09E9                                  // 000000006770: BF850007
	s_cmp_le_i32 s64, 0x80                                     // 000000006774: BF05FF40 00000080
	s_cbranch_scc1 label_0A01                                  // 00000000677C: BF850017
	s_cmp_lt_i32 s64, 0xc0                                     // 000000006780: BF04FF40 000000C0
	s_cbranch_scc1 label_0A19                                  // 000000006788: BF85002C
	s_branch label_0A32                                        // 00000000678C: BF820044

0000000000006790 <label_09E9>:
	s_mov_b32 s60, 0                                           // 000000006790: BEBC0080
	v_and_b32_e32 v32, 15, v0                                  // 000000006794: 2640008F
	v_add_u32_e64 v32, v32, s60                                // 000000006798: D1340020 00007920
	v_mul_i32_i24_e64 v33, s46, 16                             // 0000000067A0: D1060021 0001202E
	v_add_u32_e32 v32, v32, v33                                // 0000000067A8: 68404320
	v_cmp_lt_u32_e64 s[60:61], v32, s64                        // 0000000067AC: D0C9003C 00008120
	s_nop 1                                                    // 0000000067B4: BF800001
	v_cndmask_b32_e64 v36, v127, v36, s[60:61]                 // 0000000067B8: D1000024 00F2497F
	v_cndmask_b32_e64 v37, v127, v37, s[60:61]                 // 0000000067C0: D1000025 00F24B7F
	v_cndmask_b32_e64 v38, v127, v38, s[60:61]                 // 0000000067C8: D1000026 00F24D7F
	v_cndmask_b32_e64 v39, v127, v39, s[60:61]                 // 0000000067D0: D1000027 00F24F7F
	s_branch label_0A14                                        // 0000000067D8: BF820013

00000000000067dc <label_0A01>:
	s_mov_b32 s60, 64                                          // 0000000067DC: BEBC00C0
	v_and_b32_e32 v32, 15, v0                                  // 0000000067E0: 2640008F
	v_add_u32_e64 v32, v32, s60                                // 0000000067E4: D1340020 00007920
	v_mul_i32_i24_e64 v33, s46, 16                             // 0000000067EC: D1060021 0001202E
	v_add_u32_e32 v32, v32, v33                                // 0000000067F4: 68404320
	v_cmp_lt_u32_e64 s[60:61], v32, s64                        // 0000000067F8: D0C9003C 00008120
	s_nop 1                                                    // 000000006800: BF800001
	v_cndmask_b32_e64 v40, v127, v40, s[60:61]                 // 000000006804: D1000028 00F2517F
	v_cndmask_b32_e64 v41, v127, v41, s[60:61]                 // 00000000680C: D1000029 00F2537F
	v_cndmask_b32_e64 v42, v127, v42, s[60:61]                 // 000000006814: D100002A 00F2557F
	v_cndmask_b32_e64 v43, v127, v43, s[60:61]                 // 00000000681C: D100002B 00F2577F
	s_branch label_0A2D                                        // 000000006824: BF820019

0000000000006828 <label_0A14>:
	v_mov_b32_e32 v40, v127                                    // 000000006828: 7E50037F
	v_mov_b32_e32 v41, v127                                    // 00000000682C: 7E52037F
	v_mov_b32_e32 v42, v127                                    // 000000006830: 7E54037F
	v_mov_b32_e32 v43, v127                                    // 000000006834: 7E56037F
	s_branch label_0A2D                                        // 000000006838: BF820014

000000000000683c <label_0A19>:
	s_mov_b32 s60, 0x80                                        // 00000000683C: BEBC00FF 00000080
	v_and_b32_e32 v32, 15, v0                                  // 000000006844: 2640008F
	v_add_u32_e64 v32, v32, s60                                // 000000006848: D1340020 00007920
	v_mul_i32_i24_e64 v33, s46, 16                             // 000000006850: D1060021 0001202E
	v_add_u32_e32 v32, v32, v33                                // 000000006858: 68404320
	v_cmp_lt_u32_e64 s[60:61], v32, s64                        // 00000000685C: D0C9003C 00008120
	s_nop 1                                                    // 000000006864: BF800001
	v_cndmask_b32_e64 v44, v127, v44, s[60:61]                 // 000000006868: D100002C 00F2597F
	v_cndmask_b32_e64 v45, v127, v45, s[60:61]                 // 000000006870: D100002D 00F25B7F
	v_cndmask_b32_e64 v46, v127, v46, s[60:61]                 // 000000006878: D100002E 00F25D7F
	v_cndmask_b32_e64 v47, v127, v47, s[60:61]                 // 000000006880: D100002F 00F25F7F
	s_branch label_0A32                                        // 000000006888: BF820005

000000000000688c <label_0A2D>:
	v_mov_b32_e32 v44, v127                                    // 00000000688C: 7E58037F
	v_mov_b32_e32 v45, v127                                    // 000000006890: 7E5A037F
	v_mov_b32_e32 v46, v127                                    // 000000006894: 7E5C037F
	v_mov_b32_e32 v47, v127                                    // 000000006898: 7E5E037F
	s_branch label_0A32                                        // 00000000689C: BF820000

00000000000068a0 <label_0A32>:
	s_addk_i32 s74, 0x1                                        // 0000000068A0: B74A0001
	s_waitcnt lgkmcnt(8)                                       // 0000000068A4: BF8CC87F
	v_mfma_f32_16x16x32_bf16 v[60:63], v[72:75], a[64:67], 0   // 0000000068A8: D3B5003C 12028148
	v_exp_f32_e32 v36, v36                                     // 0000000068B0: 7E484124
	v_exp_f32_e32 v37, v37                                     // 0000000068B4: 7E4A4125
	v_mfma_f32_16x16x32_bf16 v[60:63], v[76:79], a[68:71], v[60:63]// 0000000068B8: D3B5003C 14F2894C
	v_exp_f32_e32 v38, v38                                     // 0000000068C0: 7E4C4126
	v_exp_f32_e32 v39, v39                                     // 0000000068C4: 7E4E4127
	v_mfma_f32_16x16x32_bf16 v[60:63], v[80:83], a[72:75], v[60:63]// 0000000068C8: D3B5003C 14F29150
	ds_read_b64_tr_b16 v[224:225], v13 offset:6144             // 0000000068D0: D9C61800 E000000D
	ds_read_b64_tr_b16 v[226:227], v13 offset:6400             // 0000000068D8: D9C61900 E200000D
	ds_read_b64_tr_b16 v[228:229], v13 offset:7168             // 0000000068E0: D9C61C00 E400000D
	ds_read_b64_tr_b16 v[230:231], v13 offset:7424             // 0000000068E8: D9C61D00 E600000D
	v_mfma_f32_16x16x32_bf16 v[60:63], v[84:87], a[76:79], v[60:63]// 0000000068F0: D3B5003C 14F29954
	v_fma_f32 v44, v44, s57, -v104                             // 0000000068F8: D1CB002C 85A0732C
	v_fma_f32 v45, v45, s57, -v105                             // 000000006900: D1CB002D 85A4732D
	v_exp_f32_e32 v40, v40                                     // 000000006908: 7E504128
	v_exp_f32_e32 v41, v41                                     // 00000000690C: 7E524129
	buffer_atomic_pk_add_bf16 v108, v7, s[32:35], 0 offen      // 000000006910: E1481000 80086C07
	v_mfma_f32_16x16x32_bf16 v[64:67], v[72:75], a[80:83], 0   // 000000006918: D3B50040 1202A148
	ds_read_b64_tr_b16 v[232:233], v13 offset:8192             // 000000006920: D9C62000 E800000D
	ds_read_b64_tr_b16 v[234:235], v13 offset:8448             // 000000006928: D9C62100 EA00000D
	ds_read_b64_tr_b16 v[236:237], v13 offset:9216             // 000000006930: D9C62400 EC00000D
	ds_read_b64_tr_b16 v[238:239], v13 offset:9472             // 000000006938: D9C62500 EE00000D
	v_mfma_f32_16x16x32_bf16 v[64:67], v[76:79], a[84:87], v[64:67]// 000000006940: D3B50040 1502A94C
	v_fma_f32 v46, v46, s57, -v106                             // 000000006948: D1CB002E 85A8732E
	v_fma_f32 v47, v47, s57, -v107                             // 000000006950: D1CB002F 85AC732F
	v_exp_f32_e32 v42, v42                                     // 000000006958: 7E54412A
	v_exp_f32_e32 v43, v43                                     // 00000000695C: 7E56412B
	v_mfma_f32_16x16x32_bf16 v[64:67], v[80:83], a[88:91], v[64:67]// 000000006960: D3B50040 1502B150
	v_exp_f32_e32 v44, v44                                     // 000000006968: 7E58412C
	v_exp_f32_e32 v45, v45                                     // 00000000696C: 7E5A412D
	v_mfma_f32_16x16x32_bf16 v[64:67], v[84:87], a[92:95], v[64:67]// 000000006970: D3B50040 1502B954
	v_cvt_pk_bf16_f32 v120, v36, v37                           // 000000006978: D2680078 00024B24
	v_cvt_pk_bf16_f32 v121, v38, v39                           // 000000006980: D2680079 00024F26
	v_cvt_pk_bf16_f32 v122, v40, v41                           // 000000006988: D268007A 00025328
	v_cvt_pk_bf16_f32 v123, v42, v43                           // 000000006990: D268007B 0002572A
	v_mfma_f32_16x16x32_bf16 v[68:71], v[72:75], a[96:99], 0   // 000000006998: D3B50044 1202C148
	v_exp_f32_e32 v46, v46                                     // 0000000069A0: 7E5C412E
	v_exp_f32_e32 v47, v47                                     // 0000000069A4: 7E5E412F
	v_mfma_f32_16x16x32_bf16 v[68:71], v[76:79], a[100:103], v[68:71]// 0000000069A8: D3B50044 1512C94C
	v_permlane16_swap_b32_e32 v120, v122                       // 0000000069B0: 7EF0B37A
	v_permlane16_swap_b32_e32 v121, v123                       // 0000000069B4: 7EF2B37B
	v_mfma_f32_16x16x32_bf16 v[68:71], v[80:83], a[104:107], v[68:71]// 0000000069B8: D3B50044 1512D150
	ds_read_b64_tr_b16 v[240:241], v13 offset:10240            // 0000000069C0: D9C62800 F000000D
	ds_read_b64_tr_b16 v[242:243], v13 offset:10496            // 0000000069C8: D9C62900 F200000D
	ds_read_b64_tr_b16 v[244:245], v13 offset:11264            // 0000000069D0: D9C62C00 F400000D
	ds_read_b64_tr_b16 v[246:247], v13 offset:11520            // 0000000069D8: D9C62D00 F600000D
	v_mfma_f32_16x16x32_bf16 v[68:71], v[84:87], a[108:111], v[68:71]// 0000000069E0: D3B50044 1512D954
	v_cvt_pk_bf16_f32 v124, v44, v45                           // 0000000069E8: D268007C 00025B2C
	v_cvt_pk_bf16_f32 v125, v46, v47                           // 0000000069F0: D268007D 00025F2E
	buffer_atomic_pk_add_bf16 v109, v7, s[32:35], 0 offen offset:768// 0000000069F8: E1481300 80086D07
	s_waitcnt lgkmcnt(12)                                      // 000000006A00: BF8CCC7F
	v_mfma_f32_32x32x16_bf16 v[128:143], v[88:91], v[120:123], v[128:143]// 000000006A04: D3B70080 0602F158
	ds_read_b64_tr_b16 a[0:1], v19                             // 000000006A0C: DBC60000 00000013
	ds_read_b64_tr_b16 a[2:3], v19 offset:256                  // 000000006A14: DBC60100 02000013
	ds_read_b64_tr_b16 a[4:5], v19 offset:12288                // 000000006A1C: DBC63000 04000013
	ds_read_b64_tr_b16 a[6:7], v19 offset:12544                // 000000006A24: DBC63100 06000013
	ds_read_b64_tr_b16 a[8:9], v19 offset:24576                // 000000006A2C: DBC66000 08000013
	buffer_atomic_pk_add_bf16 v110, v8, s[32:35], 0 offen      // 000000006A34: E1481000 80086E08
	v_mfma_f32_32x32x16_bf16 v[144:159], v[92:95], v[120:123], v[144:159]// 000000006A3C: D3B70090 0642F15C
	v_subrev_f32_dpp v60, v126, v60 quad_perm:[0,0,0,0] row_mask:0xf bank_mask:0xf// 000000006A44: 067878FA FF00007E
	v_subrev_f32_dpp v61, v126, v61 quad_perm:[1,1,1,1] row_mask:0xf bank_mask:0xf// 000000006A4C: 067A7AFA FF00557E
	v_subrev_f32_dpp v62, v126, v62 quad_perm:[2,2,2,2] row_mask:0xf bank_mask:0xf// 000000006A54: 067C7CFA FF00AA7E
	v_subrev_f32_dpp v63, v126, v63 quad_perm:[3,3,3,3] row_mask:0xf bank_mask:0xf// 000000006A5C: 067E7EFA FF00FF7E
	v_subrev_f32_dpp v64, v126, v64 quad_perm:[0,0,0,0] row_mask:0xf bank_mask:0xf// 000000006A64: 068080FA FF00007E
	v_subrev_f32_dpp v65, v126, v65 quad_perm:[1,1,1,1] row_mask:0xf bank_mask:0xf// 000000006A6C: 068282FA FF00557E
	v_subrev_f32_dpp v66, v126, v66 quad_perm:[2,2,2,2] row_mask:0xf bank_mask:0xf// 000000006A74: 068484FA FF00AA7E
	v_subrev_f32_dpp v67, v126, v67 quad_perm:[3,3,3,3] row_mask:0xf bank_mask:0xf// 000000006A7C: 068686FA FF00FF7E
	v_mul_f32_e32 v60, v36, v60                                // 000000006A84: 0A787924
	v_mul_f32_e32 v61, v37, v61                                // 000000006A88: 0A7A7B25
	v_mul_f32_e32 v62, v38, v62                                // 000000006A8C: 0A7C7D26
	v_mul_f32_e32 v63, v39, v63                                // 000000006A90: 0A7E7F27
	v_mfma_f32_32x32x16_bf16 v[160:175], v[96:99], v[120:123], v[160:175]// 000000006A94: D3B700A0 0682F160
	ds_read_b64_tr_b16 a[10:11], v19 offset:24832              // 000000006A9C: DBC66100 0A000013
	ds_read_b64_tr_b16 a[12:13], v19 offset:36864              // 000000006AA4: DBC69000 0C000013
	ds_read_b64_tr_b16 a[14:15], v19 offset:37120              // 000000006AAC: DBC69100 0E000013
	ds_read_b64_tr_b16 a[16:17], v19 offset:49152              // 000000006AB4: DBC6C000 10000013
	ds_read_b64_tr_b16 a[18:19], v19 offset:49408              // 000000006ABC: DBC6C100 12000013
	ds_read_b32 v104, v16 offset:38656                         // 000000006AC4: D86C9700 68000010
	v_mfma_f32_32x32x16_bf16 v[176:191], v[100:103], v[120:123], v[176:191]// 000000006ACC: D3B700B0 06C2F164
	v_mul_f32_e32 v64, v40, v64                                // 000000006AD4: 0A808128
	v_mul_f32_e32 v65, v41, v65                                // 000000006AD8: 0A828329
	v_mul_f32_e32 v66, v42, v66                                // 000000006ADC: 0A84852A
	v_mul_f32_e32 v67, v43, v67                                // 000000006AE0: 0A86872B
	v_permlane16_swap_b32_e32 v88, v90                         // 000000006AE4: 7EB0B35A
	v_permlane16_swap_b32_e32 v89, v91                         // 000000006AE8: 7EB2B35B
	v_cvt_pk_bf16_f32 v60, v60, v61                            // 000000006AEC: D268003C 00027B3C
	v_cvt_pk_bf16_f32 v61, v62, v63                            // 000000006AF4: D268003D 00027F3E
	v_cvt_pk_bf16_f32 v62, v64, v65                            // 000000006AFC: D268003E 00028340
	v_cvt_pk_bf16_f32 v63, v66, v67                            // 000000006B04: D268003F 00028742
	v_permlane16_swap_b32_e32 v92, v94                         // 000000006B0C: 7EB8B35E
	v_permlane16_swap_b32_e32 v93, v95                         // 000000006B10: 7EBAB35F
	v_mfma_f32_16x16x16_bf16 v[192:195], v[88:89], v[124:125], v[192:195]// 000000006B14: D3E100C0 0702F958
	buffer_atomic_pk_add_bf16 v111, v8, s[32:35], 0 offen offset:768// 000000006B1C: E1481300 80086F08
	ds_write_b64 v15, v[60:61] offset:30720                    // 000000006B24: D89A7800 00003C0F
	ds_write_b64 v15, v[62:63] offset:33024                    // 000000006B2C: D89A8100 00003E0F
	v_mfma_f32_16x16x16_bf16 v[196:199], v[90:91], v[124:125], v[196:199]// 000000006B34: D3E100C4 0712F95A
	v_permlane16_swap_b32_e32 v96, v98                         // 000000006B3C: 7EC0B362
	v_permlane16_swap_b32_e32 v97, v99                         // 000000006B40: 7EC2B363
	v_subrev_f32_dpp v68, v126, v68 quad_perm:[0,0,0,0] row_mask:0xf bank_mask:0xf// 000000006B44: 068888FA FF00007E
	v_subrev_f32_dpp v69, v126, v69 quad_perm:[1,1,1,1] row_mask:0xf bank_mask:0xf// 000000006B4C: 068A8AFA FF00557E
	v_mfma_f32_16x16x16_bf16 v[200:203], v[92:93], v[124:125], v[200:203]// 000000006B54: D3E100C8 0722F95C
	v_permlane16_swap_b32_e32 v100, v102                       // 000000006B5C: 7EC8B366
	v_permlane16_swap_b32_e32 v101, v103                       // 000000006B60: 7ECAB367
	v_subrev_f32_dpp v70, v126, v70 quad_perm:[2,2,2,2] row_mask:0xf bank_mask:0xf// 000000006B64: 068C8CFA FF00AA7E
	v_subrev_f32_dpp v71, v126, v71 quad_perm:[3,3,3,3] row_mask:0xf bank_mask:0xf// 000000006B6C: 068E8EFA FF00FF7E
	v_mfma_f32_16x16x16_bf16 v[204:207], v[94:95], v[124:125], v[204:207]// 000000006B74: D3E100CC 0732F95E
	v_permlane16_swap_b32_e32 v60, v62                         // 000000006B7C: 7E78B33E
	v_permlane16_swap_b32_e32 v61, v63                         // 000000006B80: 7E7AB33F
	v_mfma_f32_16x16x16_bf16 v[208:211], v[96:97], v[124:125], v[208:211]// 000000006B84: D3E100D0 0742F960
	ds_read_b64_tr_b16 a[20:21], v19 offset:61440              // 000000006B8C: DBC6F000 14000013
	ds_read_b64_tr_b16 a[22:23], v19 offset:61696              // 000000006B94: DBC6F100 16000013
	ds_read_b64_tr_b16 a[24:25], v20                           // 000000006B9C: DBC60000 18000014
	v_mfma_f32_16x16x16_bf16 v[212:215], v[98:99], v[124:125], v[212:215]// 000000006BA4: D3E100D4 0752F962
	v_mul_f32_e32 v68, v44, v68                                // 000000006BAC: 0A88892C
	v_mul_f32_e32 v69, v45, v69                                // 000000006BB0: 0A8A8B2D
	v_mul_f32_e32 v70, v46, v70                                // 000000006BB4: 0A8C8D2E
	v_mfma_f32_16x16x16_bf16 v[216:219], v[100:101], v[124:125], v[216:219]// 000000006BB8: D3E100D8 0762F964
	ds_read_b32 v126, v16 offset:38912                         // 000000006BC0: D86C9800 7E000010
	ds_read_b64_tr_b16 a[26:27], v20 offset:256                // 000000006BC8: DBC60100 1A000014
	ds_read_b64_tr_b16 a[28:29], v20 offset:12288              // 000000006BD0: DBC63000 1C000014
	v_mfma_f32_16x16x16_bf16 v[220:223], v[102:103], v[124:125], v[220:223]// 000000006BD8: D3E100DC 0772F966
	v_mul_f32_e32 v71, v47, v71                                // 000000006BE0: 0A8E8F2F
	v_cvt_pk_bf16_f32 v64, v68, v69                            // 000000006BE4: D2680040 00028B44
	v_cvt_pk_bf16_f32 v65, v70, v71                            // 000000006BEC: D2680041 00028F46
	s_waitcnt lgkmcnt(8)                                       // 000000006BF4: BF8CC87F
	v_mfma_f32_32x32x16_bf16 a[112:127], v[224:227], v[60:63], a[112:127]// 000000006BF8: D3B78070 05C279E0
	ds_read_b64_tr_b16 a[30:31], v20 offset:12544              // 000000006C00: DBC63100 1E000014
	ds_write_b64 v15, v[64:65] offset:35328                    // 000000006C08: D89A8A00 0000400F
	ds_read_b64_tr_b16 a[32:33], v20 offset:24576              // 000000006C10: DBC66000 20000014
	ds_read_b64_tr_b16 a[34:35], v20 offset:24832              // 000000006C18: DBC66100 22000014
	v_mfma_f32_32x32x16_bf16 a[128:143], v[228:231], v[60:63], a[128:143]// 000000006C20: D3B78080 060279E4
	v_cmp_eq_f32_e32 vcc, v127, v104                           // 000000006C28: 7C84D17F
	v_cndmask_b32_e64 v104, v104, 0, vcc                       // 000000006C2C: D1000068 01A90168
	v_mul_f32_e32 v104, s48, v104                              // 000000006C34: 0AD0D030
	buffer_atomic_pk_add_bf16 v112, v9, s[32:35], 0 offen      // 000000006C38: E1481000 80087009
	v_mfma_f32_32x32x16_bf16 a[144:159], v[232:235], v[60:63], a[144:159]// 000000006C40: D3B78090 064279E8
	ds_read_b64_tr_b16 a[36:37], v20 offset:36864              // 000000006C48: DBC69000 24000014
	ds_read_b64_tr_b16 a[38:39], v20 offset:37120              // 000000006C50: DBC69100 26000014
	ds_read_b64_tr_b16 a[40:41], v20 offset:49152              // 000000006C58: DBC6C000 28000014
	ds_read_b64_tr_b16 a[42:43], v20 offset:49408              // 000000006C60: DBC6C100 2A000014
	ds_read_b64_tr_b16 a[44:45], v20 offset:61440              // 000000006C68: DBC6F000 2C000014
	ds_read_b64_tr_b16 a[46:47], v20 offset:61696              // 000000006C70: DBC6F100 2E000014
	v_mfma_f32_32x32x16_bf16 a[160:175], v[236:239], v[60:63], a[160:175]// 000000006C78: D3B780A0 068279EC
	.long 0x7fc0b3e2                                           // 000000006C80: 7FC0B3E2
	.long 0x7fc2b3e3                                           // 000000006C84: 7FC2B3E3
	s_waitcnt lgkmcnt(8)                                       // 000000006C88: BF8CC87F
	s_barrier                                                  // 000000006C8C: BF8A0000
	v_mfma_f32_32x32x16_bf16 a[176:191], v[240:243], v[60:63], a[176:191]// 000000006C90: D3B780B0 06C279F0
	ds_read_b64_tr_b16 v[36:37], v14 offset:30720              // 000000006C98: D9C67800 2400000E
	ds_read_b64_tr_b16 v[38:39], v14 offset:30752              // 000000006CA0: D9C67820 2600000E
	ds_read_b64_tr_b16 v[40:41], v14 offset:31872              // 000000006CA8: D9C67C80 2800000E
	ds_read_b64_tr_b16 v[42:43], v14 offset:31904              // 000000006CB0: D9C67CA0 2A00000E
	ds_read_b64_tr_b16 v[44:45], v14 offset:33024              // 000000006CB8: D9C68100 2C00000E
	ds_read_b64_tr_b16 v[46:47], v14 offset:33056              // 000000006CC0: D9C68120 2E00000E
	v_mfma_f32_32x32x16_bf16 a[192:207], v[244:247], v[60:63], a[192:207]// 000000006CC8: D3B780C0 070279F4
	.long 0x7fc8b3e6                                           // 000000006CD0: 7FC8B3E6
	.long 0x7fcab3e7                                           // 000000006CD4: 7FCAB3E7
	v_mov_b32_dpp v107, v104 quad_perm:[3,3,3,3] row_mask:0xf bank_mask:0xf// 000000006CD8: 7ED602FA FF00FF68
	v_mov_b32_dpp v106, v104 quad_perm:[2,2,2,2] row_mask:0xf bank_mask:0xf// 000000006CE0: 7ED402FA FF00AA68
	v_mfma_f32_16x16x16_bf16 a[208:211], v[224:225], v[64:65], a[208:211]// 000000006CE8: D3E180D0 074281E0
	ds_read_b64_tr_b16 v[48:49], v14 offset:34176              // 000000006CF0: D9C68580 3000000E
	ds_read_b64_tr_b16 v[50:51], v14 offset:34208              // 000000006CF8: D9C685A0 3200000E
	ds_read_b64_tr_b16 v[52:53], v14 offset:35328              // 000000006D00: D9C68A00 3400000E
	v_mfma_f32_16x16x16_bf16 a[212:215], v[226:227], v[64:65], a[212:215]// 000000006D08: D3E180D4 075281E2
	.long 0x7fd0b3ea                                           // 000000006D10: 7FD0B3EA
	.long 0x7fd2b3eb                                           // 000000006D14: 7FD2B3EB
	v_mfma_f32_16x16x16_bf16 a[216:219], v[228:229], v[64:65], a[216:219]// 000000006D18: D3E180D8 076281E4
	ds_read_b64_tr_b16 v[54:55], v14 offset:35360              // 000000006D20: D9C68A20 3600000E
	ds_read_b64_tr_b16 v[56:57], v14 offset:36480              // 000000006D28: D9C68E80 3800000E
	ds_read_b64_tr_b16 v[58:59], v14 offset:36512              // 000000006D30: D9C68EA0 3A00000E
	v_mfma_f32_16x16x16_bf16 a[220:223], v[230:231], v[64:65], a[220:223]// 000000006D38: D3E180DC 077281E6
	v_permlane16_swap_b32_e32 v236, v238                       // 000000006D40: 7FD8B3EE
	v_permlane16_swap_b32_e32 v237, v239                       // 000000006D44: 7FDAB3EF
	v_mfma_f32_16x16x16_bf16 a[224:227], v[232:233], v[64:65], a[224:227]// 000000006D48: D3E180E0 078281E8
	ds_read_b64_tr_b16 a[48:49], v21                           // 000000006D50: DBC60000 30000015
	ds_read_b64_tr_b16 a[50:51], v21 offset:256                // 000000006D58: DBC60100 32000015
	ds_read_b64_tr_b16 a[52:53], v21 offset:12288              // 000000006D60: DBC63000 34000015
	v_mfma_f32_16x16x16_bf16 a[228:231], v[234:235], v[64:65], a[228:231]// 000000006D68: D3E180E4 079281EA
	v_permlane16_swap_b32_e32 v240, v242                       // 000000006D70: 7FE0B3F2
	v_permlane16_swap_b32_e32 v241, v243                       // 000000006D74: 7FE2B3F3
	v_mfma_f32_16x16x16_bf16 a[232:235], v[236:237], v[64:65], a[232:235]// 000000006D78: D3E180E8 07A281EC
	ds_read_b64_tr_b16 a[54:55], v21 offset:12544              // 000000006D80: DBC63100 36000015
	ds_read_b64_tr_b16 a[56:57], v21 offset:24576              // 000000006D88: DBC66000 38000015
	ds_read_b64_tr_b16 a[58:59], v21 offset:24832              // 000000006D90: DBC66100 3A000015
	v_mfma_f32_16x16x16_bf16 a[236:239], v[238:239], v[64:65], a[236:239]// 000000006D98: D3E180EC 07B281EE
	v_permlane16_swap_b32_e32 v244, v246                       // 000000006DA0: 7FE8B3F6
	v_permlane16_swap_b32_e32 v245, v247                       // 000000006DA4: 7FEAB3F7
	v_mfma_f32_16x16x16_bf16 a[240:243], v[240:241], v[64:65], a[240:243]// 000000006DA8: D3E180F0 07C281F0
	ds_read_b64_tr_b16 a[60:61], v21 offset:36864              // 000000006DB0: DBC69000 3C000015
	ds_read_b64_tr_b16 a[62:63], v21 offset:37120              // 000000006DB8: DBC69100 3E000015
	ds_read_b64_tr_b16 v[248:249], v21 offset:49152            // 000000006DC0: D9C6C000 F8000015
	v_mfma_f32_16x16x16_bf16 a[244:247], v[242:243], v[64:65], a[244:247]// 000000006DC8: D3E180F4 07D281F2
	v_mov_b32_dpp v105, v104 quad_perm:[1,1,1,1] row_mask:0xf bank_mask:0xf// 000000006DD0: 7ED202FA FF005568
	buffer_atomic_pk_add_bf16 v113, v9, s[32:35], 0 offen offset:768// 000000006DD8: E1481300 80087109
	v_mfma_f32_16x16x16_bf16 a[248:251], v[244:245], v[64:65], a[248:251]// 000000006DE0: D3E180F8 07E281F4
	ds_read_b64_tr_b16 v[250:251], v21 offset:49408            // 000000006DE8: D9C6C100 FA000015
	ds_read_b64_tr_b16 v[252:253], v21 offset:61440            // 000000006DF0: D9C6F000 FC000015
	ds_read_b64_tr_b16 v[254:255], v21 offset:61696            // 000000006DF8: D9C6F100 FE000015
	v_mfma_f32_16x16x16_bf16 a[252:255], v[246:247], v[64:65], a[252:255]// 000000006E00: D3E180FC 07F281F6
	v_mov_b32_dpp v104, v104 quad_perm:[0,0,0,0] row_mask:0xf bank_mask:0xf// 000000006E08: 7ED002FA FF000068
	s_waitcnt vmcnt(6) lgkmcnt(6)                              // 000000006E10: BF8C0676
	s_barrier                                                  // 000000006E14: BF8A0000
	v_mfma_f32_16x16x32_bf16 v[108:111], a[0:3], v[36:39], 0   // 000000006E18: D3B5006C 0A024900
	ds_read_b128 v[224:227], v12 offset:12288                  // 000000006E20: D9FE3000 E000000C
	ds_read_b128 v[228:231], v12 offset:13312                  // 000000006E28: D9FE3400 E400000C
	v_mfma_f32_16x16x32_bf16 v[108:111], a[4:7], v[40:43], v[108:111]// 000000006E30: D3B5006C 0DB25104
	s_mov_b32 m0, s84                                          // 000000006E38: BEFC0054
	buffer_load_dwordx4 v1, s[8:11], 0 idxen lds               // 000000006E3C: E05D2000 80020001
	v_mfma_f32_16x16x32_bf16 v[108:111], a[8:11], v[44:47], v[108:111]// 000000006E44: D3B5006C 0DB25908
	ds_read_b128 v[232:235], v12 offset:14336                  // 000000006E4C: D9FE3800 E800000C
	ds_read_b128 v[236:239], v12 offset:15360                  // 000000006E54: D9FE3C00 EC00000C
	v_mfma_f32_16x16x32_bf16 v[108:111], a[12:15], v[48:51], v[108:111]// 000000006E5C: D3B5006C 0DB2610C
	s_mov_b32 m0, s85                                          // 000000006E64: BEFC0055
	buffer_load_dword v2, s[8:11], 0 idxen lds                 // 000000006E68: E0512000 80020002
	v_mfma_f32_16x16x32_bf16 v[108:111], a[16:19], v[52:55], v[108:111]// 000000006E70: D3B5006C 0DB26910
	ds_read_b128 v[240:243], v12 offset:16384                  // 000000006E78: D9FE4000 F000000C
	ds_read_b128 v[244:247], v12 offset:17408                  // 000000006E80: D9FE4400 F400000C
	v_mfma_f32_16x16x32_bf16 v[108:111], a[20:23], v[56:59], v[108:111]// 000000006E88: D3B5006C 0DB27114
	s_mov_b32 m0, s86                                          // 000000006E90: BEFC0056
	buffer_load_dword v3, s[8:11], 0 idxen lds                 // 000000006E94: E0512000 80020003
	v_mfma_f32_16x16x32_bf16 v[112:115], a[24:27], v[36:39], 0 // 000000006E9C: D3B50070 0A024918
	ds_read_b128 a[0:3], v17                                   // 000000006EA4: DBFE0000 00000011
	ds_read_b128 a[4:7], v17 offset:1024                       // 000000006EAC: DBFE0400 04000011
	v_mfma_f32_16x16x32_bf16 v[112:115], a[28:31], v[40:43], v[112:115]// 000000006EB4: D3B50070 0DC2511C
	s_mov_b32 m0, s100                                         // 000000006EBC: BEFC0064
	buffer_load_dwordx4 v4, s[20:23], 0 idxen lds              // 000000006EC0: E05D2000 80050004
	v_mfma_f32_16x16x32_bf16 v[112:115], a[32:35], v[44:47], v[112:115]// 000000006EC8: D3B50070 0DC25920
	ds_read_b128 a[8:11], v17 offset:2048                      // 000000006ED0: DBFE0800 08000011
	ds_read_b128 a[12:15], v17 offset:3072                     // 000000006ED8: DBFE0C00 0C000011
	v_mfma_f32_16x16x32_bf16 v[112:115], a[36:39], v[48:51], v[112:115]// 000000006EE0: D3B50070 0DC26124
	v_mul_f32_e32 v108, s47, v108                              // 000000006EE8: 0AD8D82F
	v_mul_f32_e32 v109, s47, v109                              // 000000006EEC: 0ADADA2F
	s_mov_b32 m0, s79                                          // 000000006EF0: BEFC004F
	buffer_load_dword v11, s[24:27], 0 idxen lds               // 000000006EF4: E0512000 8006000B
	v_mfma_f32_16x16x32_bf16 v[112:115], a[40:43], v[52:55], v[112:115]// 000000006EFC: D3B50070 0DC26928
	ds_read_b128 a[16:19], v17 offset:4096                     // 000000006F04: DBFE1000 10000011
	ds_read_b128 a[20:23], v17 offset:5120                     // 000000006F0C: DBFE1400 14000011
	v_mfma_f32_16x16x32_bf16 v[112:115], a[44:47], v[56:59], v[112:115]// 000000006F14: D3B50070 0DC2712C
	s_add_u32 s60, 64, s59                                     // 000000006F1C: 803C3BC0
	s_cmp_lt_u32 s60, s58                                      // 000000006F20: BF0A3A3C
	s_cselect_b32 s68, s68, 0                                  // 000000006F24: 85448044
	s_cselect_b32 s98, s98, 0                                  // 000000006F28: 85628062
	s_cselect_b32 s69, s69, 0                                  // 000000006F2C: 85458045
	v_mfma_f32_16x16x32_bf16 v[116:119], a[48:51], v[36:39], 0 // 000000006F30: D3B50074 0A024930
	ds_read_b128 a[24:27], v17 offset:24576                    // 000000006F38: DBFE6000 18000011
	ds_read_b128 a[28:31], v17 offset:25600                    // 000000006F40: DBFE6400 1C000011
	v_mfma_f32_16x16x32_bf16 v[116:119], a[52:55], v[40:43], v[116:119]// 000000006F48: D3B50074 0DD25134
	v_add_u32_e32 v1, s68, v1                                  // 000000006F50: 68020244
	v_add_u32_e32 v2, s68, v2                                  // 000000006F54: 68040444
	v_add_u32_e32 v3, s68, v3                                  // 000000006F58: 68060644
	v_add_u32_e32 v4, s98, v4                                  // 000000006F5C: 68080862
	v_add_u32_e32 v11, s69, v11                                // 000000006F60: 68161645
	s_waitcnt lgkmcnt(14)                                      // 000000006F64: BF8CCE7F
	v_mfma_f32_16x16x32_bf16 v[116:119], a[56:59], v[44:47], v[116:119]// 000000006F68: D3B50074 0DD25938
	ds_read_b128 a[32:35], v17 offset:26624                    // 000000006F70: DBFE6800 20000011
	ds_read_b128 a[36:39], v17 offset:27648                    // 000000006F78: DBFE6C00 24000011
	v_mfma_f32_16x16x32_bf16 v[116:119], a[60:63], v[48:51], v[116:119]// 000000006F80: D3B50074 0DD2613C
	v_mul_f32_e32 v110, s47, v110                              // 000000006F88: 0ADCDC2F
	v_mul_f32_e32 v111, s47, v111                              // 000000006F8C: 0ADEDE2F
	s_cmp_ge_u32 s59, s73                                      // 000000006F90: BF09493B
	s_cselect_b32 s66, s67, s66                                // 000000006F94: 85424243
	v_mfma_f32_16x16x32_bf16 v[116:119], v[248:251], v[52:55], v[116:119]// 000000006F98: D3B50074 05D269F8
	ds_read_b128 a[40:43], v17 offset:28672                    // 000000006FA0: DBFE7000 28000011
	ds_read_b128 a[44:47], v17 offset:29696                    // 000000006FA8: DBFE7400 2C000011
	v_mfma_f32_16x16x32_bf16 v[116:119], v[252:255], v[56:59], v[116:119]// 000000006FB0: D3B50074 05D271FC
	s_addk_i32 s59, 0x10                                       // 000000006FB8: B73B0010
	v_mul_f32_e32 v112, s47, v112                              // 000000006FBC: 0AE0E02F
	v_mul_f32_e32 v113, s47, v113                              // 000000006FC0: 0AE2E22F
	s_cmp_lt_i32 s59, s58                                      // 000000006FC4: BF043A3B
	s_cbranch_scc0 label_0ED1                                  // 000000006FC8: BF8402CF
	s_waitcnt lgkmcnt(2)                                       // 000000006FCC: BF8CC27F
	v_mfma_f32_16x16x32_bf16 v[36:39], v[224:227], a[0:3], 0   // 000000006FD0: D3B50024 120201E0
	ds_read_b128 a[48:51], v17 offset:49152                    // 000000006FD8: DBFEC000 30000011
	ds_read_b128 a[52:55], v17 offset:50176                    // 000000006FE0: DBFEC400 34000011
	v_mfma_f32_16x16x32_bf16 v[36:39], v[228:231], a[4:7], v[36:39]// 000000006FE8: D3B50024 149209E4
	v_add_u32_e32 v7, s66, v7                                  // 000000006FF0: 680E0E42
	v_add_u32_e32 v8, s66, v8                                  // 000000006FF4: 68101042
	v_add_u32_e32 v9, s66, v9                                  // 000000006FF8: 68121242
	v_mfma_f32_16x16x32_bf16 v[36:39], v[232:235], a[8:11], v[36:39]// 000000006FFC: D3B50024 149211E8
	ds_read_b128 a[56:59], v17 offset:51200                    // 000000007004: DBFEC800 38000011
	ds_read_b128 a[60:63], v17 offset:52224                    // 00000000700C: DBFECC00 3C000011
	v_mfma_f32_16x16x32_bf16 v[36:39], v[236:239], a[12:15], v[36:39]// 000000007014: D3B50024 149219EC
	v_cvt_pk_bf16_f32 v108, v108, v109                         // 00000000701C: D268006C 0002DB6C
	v_cvt_pk_bf16_f32 v109, v110, v111                         // 000000007024: D268006D 0002DF6E
	v_mfma_f32_16x16x32_bf16 v[36:39], v[240:243], a[16:19], v[36:39]// 00000000702C: D3B50024 149221F0
	ds_read_b128 v[248:251], v17 offset:53248                  // 000000007034: D9FED000 F8000011
	ds_read_b128 v[252:255], v17 offset:54272                  // 00000000703C: D9FED400 FC000011
	v_mfma_f32_16x16x32_bf16 v[36:39], v[244:247], a[20:23], v[36:39]// 000000007044: D3B50024 149229F4
	v_mul_f32_e32 v114, s47, v114                              // 00000000704C: 0AE4E42F
	v_mul_f32_e32 v115, s47, v115                              // 000000007050: 0AE6E62F
	v_mfma_f32_16x16x32_bf16 v[40:43], v[224:227], a[24:27], 0 // 000000007054: D3B50028 120231E0
	ds_read_b128 v[72:75], v12 offset:26624                    // 00000000705C: D9FE6800 4800000C
	ds_read_b128 v[76:79], v12 offset:27648                    // 000000007064: D9FE6C00 4C00000C
	v_mfma_f32_16x16x32_bf16 v[40:43], v[228:231], a[28:31], v[40:43]// 00000000706C: D3B50028 14A239E4
	v_mul_f32_e32 v116, s47, v116                              // 000000007074: 0AE8E82F
	v_mul_f32_e32 v117, s47, v117                              // 000000007078: 0AEAEA2F
	v_mfma_f32_16x16x32_bf16 v[40:43], v[232:235], a[32:35], v[40:43]// 00000000707C: D3B50028 14A241E8
	ds_read_b128 v[80:83], v12 offset:28672                    // 000000007084: D9FE7000 5000000C
	ds_read_b128 v[84:87], v12 offset:29696                    // 00000000708C: D9FE7400 5400000C
	v_mfma_f32_16x16x32_bf16 v[40:43], v[236:239], a[36:39], v[40:43]// 000000007094: D3B50028 14A249EC
	v_mul_f32_e32 v118, s47, v118                              // 00000000709C: 0AECEC2F
	v_mul_f32_e32 v119, s47, v119                              // 0000000070A0: 0AEEEE2F
	v_cvt_pk_bf16_f32 v110, v112, v113                         // 0000000070A4: D268006E 0002E370
	v_cvt_pk_bf16_f32 v111, v114, v115                         // 0000000070AC: D268006F 0002E772
	s_waitcnt lgkmcnt(10)                                      // 0000000070B4: BF8CCA7F
	v_mfma_f32_16x16x32_bf16 v[40:43], v[240:243], a[40:43], v[40:43]// 0000000070B8: D3B50028 14A251F0
	ds_read_b64_tr_b16 v[88:89], v13 offset:26624              // 0000000070C0: D9C66800 5800000D
	ds_read_b64_tr_b16 v[90:91], v13 offset:26880              // 0000000070C8: D9C66900 5A00000D
	v_mfma_f32_16x16x32_bf16 v[40:43], v[244:247], a[44:47], v[40:43]// 0000000070D0: D3B50028 14A259F4
	v_fma_f32 v36, v36, s57, -v104                             // 0000000070D8: D1CB0024 85A07324
	v_fma_f32 v37, v37, s57, -v105                             // 0000000070E0: D1CB0025 85A47325
	s_waitcnt lgkmcnt(10)                                      // 0000000070E8: BF8CCA7F
	v_mfma_f32_16x16x32_bf16 v[44:47], v[224:227], a[48:51], 0 // 0000000070EC: D3B5002C 120261E0
	ds_read_b64_tr_b16 v[92:93], v13 offset:27648              // 0000000070F4: D9C66C00 5C00000D
	ds_read_b64_tr_b16 v[94:95], v13 offset:27904              // 0000000070FC: D9C66D00 5E00000D
	v_mfma_f32_16x16x32_bf16 v[44:47], v[228:231], a[52:55], v[44:47]// 000000007104: D3B5002C 14B269E4
	v_fma_f32 v38, v38, s57, -v106                             // 00000000710C: D1CB0026 85A87326
	v_fma_f32 v39, v39, s57, -v107                             // 000000007114: D1CB0027 85AC7327
	s_waitcnt lgkmcnt(10)                                      // 00000000711C: BF8CCA7F
	v_mfma_f32_16x16x32_bf16 v[44:47], v[232:235], a[56:59], v[44:47]// 000000007120: D3B5002C 14B271E8
	ds_read_b64_tr_b16 v[96:97], v13 offset:28672              // 000000007128: D9C67000 6000000D
	ds_read_b64_tr_b16 v[98:99], v13 offset:28928              // 000000007130: D9C67100 6200000D
	v_mfma_f32_16x16x32_bf16 v[44:47], v[236:239], a[60:63], v[44:47]// 000000007138: D3B5002C 14B279EC
	v_fma_f32 v40, v40, s57, -v104                             // 000000007140: D1CB0028 85A07328
	v_fma_f32 v41, v41, s57, -v105                             // 000000007148: D1CB0029 85A47329
	v_cvt_pk_bf16_f32 v112, v116, v117                         // 000000007150: D2680070 0002EB74
	v_cvt_pk_bf16_f32 v113, v118, v119                         // 000000007158: D2680071 0002EF76
	s_waitcnt lgkmcnt(10)                                      // 000000007160: BF8CCA7F
	v_mfma_f32_16x16x32_bf16 v[44:47], v[240:243], v[248:251], v[44:47]// 000000007164: D3B5002C 04B3F1F0
	ds_read_b64_tr_b16 v[100:101], v13 offset:29696            // 00000000716C: D9C67400 6400000D
	ds_read_b64_tr_b16 v[102:103], v13 offset:29952            // 000000007174: D9C67500 6600000D
	v_mfma_f32_16x16x32_bf16 v[44:47], v[244:247], v[252:255], v[44:47]// 00000000717C: D3B5002C 04B3F9F4
	v_fma_f32 v42, v42, s57, -v106                             // 000000007184: D1CB002A 85A8732A
	v_fma_f32 v43, v43, s57, -v107                             // 00000000718C: D1CB002B 85AC732B
	s_cmp_eq_i32 s90, 0                                        // 000000007194: BF00805A
	s_cbranch_scc1 label_0D05                                  // 000000007198: BF85008F
	s_cmp_lt_i32 s74, 13                                       // 00000000719C: BF048D4A
	s_cbranch_scc0 label_0CB0                                  // 0000000071A0: BF84003D
	s_lshl_b32 s60, s74, 4                                     // 0000000071A4: 8E3C844A
	v_sub_i32 v32, v24, s60                                    // 0000000071A8: D29D0020 00007918
	s_mov_b32 s61, 0                                           // 0000000071B0: BEBD0080
	v_add_i32 v33, v32, s61                                    // 0000000071B4: D29C0021 00007B20
	v_cmp_gt_i32_e64 s[60:61], v33, 0                          // 0000000071BC: D0C4003C 00010121
	v_cmp_gt_i32_e64 s[92:93], v33, 1                          // 0000000071C4: D0C4005C 00010321
	v_cndmask_b32_e64 v36, v36, v127, s[60:61]                 // 0000000071CC: D1000024 00F2FF24
	v_cndmask_b32_e64 v37, v37, v127, s[92:93]                 // 0000000071D4: D1000025 0172FF25
	v_cmp_gt_i32_e64 s[60:61], v33, 2                          // 0000000071DC: D0C4003C 00010521
	v_cmp_gt_i32_e64 s[92:93], v33, 3                          // 0000000071E4: D0C4005C 00010721
	v_cndmask_b32_e64 v38, v38, v127, s[60:61]                 // 0000000071EC: D1000026 00F2FF26
	v_cndmask_b32_e64 v39, v39, v127, s[92:93]                 // 0000000071F4: D1000027 0172FF27
	s_mov_b32 s61, 64                                          // 0000000071FC: BEBD00C0
	v_add_i32 v33, v32, s61                                    // 000000007200: D29C0021 00007B20
	v_cmp_gt_i32_e64 s[60:61], v33, 0                          // 000000007208: D0C4003C 00010121
	v_cmp_gt_i32_e64 s[92:93], v33, 1                          // 000000007210: D0C4005C 00010321
	v_cndmask_b32_e64 v40, v40, v127, s[60:61]                 // 000000007218: D1000028 00F2FF28
	v_cndmask_b32_e64 v41, v41, v127, s[92:93]                 // 000000007220: D1000029 0172FF29
	v_cmp_gt_i32_e64 s[60:61], v33, 2                          // 000000007228: D0C4003C 00010521
	v_cmp_gt_i32_e64 s[92:93], v33, 3                          // 000000007230: D0C4005C 00010721
	v_cndmask_b32_e64 v42, v42, v127, s[60:61]                 // 000000007238: D100002A 00F2FF2A
	v_cndmask_b32_e64 v43, v43, v127, s[92:93]                 // 000000007240: D100002B 0172FF2B
	s_mov_b32 s61, 0x80                                        // 000000007248: BEBD00FF 00000080
	v_add_i32 v33, v32, s61                                    // 000000007250: D29C0021 00007B20
	v_cmp_gt_i32_e64 s[60:61], v33, 0                          // 000000007258: D0C4003C 00010121
	v_cmp_gt_i32_e64 s[92:93], v33, 1                          // 000000007260: D0C4005C 00010321
	v_cndmask_b32_e64 v44, v44, v127, s[60:61]                 // 000000007268: D100002C 00F2FF2C
	v_cndmask_b32_e64 v45, v45, v127, s[92:93]                 // 000000007270: D100002D 0172FF2D
	v_cmp_gt_i32_e64 s[60:61], v33, 2                          // 000000007278: D0C4003C 00010521
	v_cmp_gt_i32_e64 s[92:93], v33, 3                          // 000000007280: D0C4005C 00010721
	v_cndmask_b32_e64 v46, v46, v127, s[60:61]                 // 000000007288: D100002E 00F2FF2E
	v_cndmask_b32_e64 v47, v47, v127, s[92:93]                 // 000000007290: D100002F 0172FF2F

0000000000007298 <label_0CB0>:
	s_cmp_lt_i32 s64, 0xc0                                     // 000000007298: BF04FF40 000000C0
	s_cbranch_scc0 label_0D05                                  // 0000000072A0: BF84004D
	s_cmp_le_i32 s64, 64                                       // 0000000072A4: BF05C040
	s_cbranch_scc1 label_0CBC                                  // 0000000072A8: BF850007
	s_cmp_le_i32 s64, 0x80                                     // 0000000072AC: BF05FF40 00000080
	s_cbranch_scc1 label_0CD4                                  // 0000000072B4: BF850017
	s_cmp_lt_i32 s64, 0xc0                                     // 0000000072B8: BF04FF40 000000C0
	s_cbranch_scc1 label_0CEC                                  // 0000000072C0: BF85002C
	s_branch label_0D05                                        // 0000000072C4: BF820044

00000000000072c8 <label_0CBC>:
	s_mov_b32 s60, 0                                           // 0000000072C8: BEBC0080
	v_and_b32_e32 v32, 15, v0                                  // 0000000072CC: 2640008F
	v_add_u32_e64 v32, v32, s60                                // 0000000072D0: D1340020 00007920
	v_mul_i32_i24_e64 v33, s46, 16                             // 0000000072D8: D1060021 0001202E
	v_add_u32_e32 v32, v32, v33                                // 0000000072E0: 68404320
	v_cmp_lt_u32_e64 s[60:61], v32, s64                        // 0000000072E4: D0C9003C 00008120
	s_nop 1                                                    // 0000000072EC: BF800001
	v_cndmask_b32_e64 v36, v127, v36, s[60:61]                 // 0000000072F0: D1000024 00F2497F
	v_cndmask_b32_e64 v37, v127, v37, s[60:61]                 // 0000000072F8: D1000025 00F24B7F
	v_cndmask_b32_e64 v38, v127, v38, s[60:61]                 // 000000007300: D1000026 00F24D7F
	v_cndmask_b32_e64 v39, v127, v39, s[60:61]                 // 000000007308: D1000027 00F24F7F
	s_branch label_0CE7                                        // 000000007310: BF820013

0000000000007314 <label_0CD4>:
	s_mov_b32 s60, 64                                          // 000000007314: BEBC00C0
	v_and_b32_e32 v32, 15, v0                                  // 000000007318: 2640008F
	v_add_u32_e64 v32, v32, s60                                // 00000000731C: D1340020 00007920
	v_mul_i32_i24_e64 v33, s46, 16                             // 000000007324: D1060021 0001202E
	v_add_u32_e32 v32, v32, v33                                // 00000000732C: 68404320
	v_cmp_lt_u32_e64 s[60:61], v32, s64                        // 000000007330: D0C9003C 00008120
	s_nop 1                                                    // 000000007338: BF800001
	v_cndmask_b32_e64 v40, v127, v40, s[60:61]                 // 00000000733C: D1000028 00F2517F
	v_cndmask_b32_e64 v41, v127, v41, s[60:61]                 // 000000007344: D1000029 00F2537F
	v_cndmask_b32_e64 v42, v127, v42, s[60:61]                 // 00000000734C: D100002A 00F2557F
	v_cndmask_b32_e64 v43, v127, v43, s[60:61]                 // 000000007354: D100002B 00F2577F
	s_branch label_0D00                                        // 00000000735C: BF820019

0000000000007360 <label_0CE7>:
	v_mov_b32_e32 v40, v127                                    // 000000007360: 7E50037F
	v_mov_b32_e32 v41, v127                                    // 000000007364: 7E52037F
	v_mov_b32_e32 v42, v127                                    // 000000007368: 7E54037F
	v_mov_b32_e32 v43, v127                                    // 00000000736C: 7E56037F
	s_branch label_0D00                                        // 000000007370: BF820014

0000000000007374 <label_0CEC>:
	s_mov_b32 s60, 0x80                                        // 000000007374: BEBC00FF 00000080
	v_and_b32_e32 v32, 15, v0                                  // 00000000737C: 2640008F
	v_add_u32_e64 v32, v32, s60                                // 000000007380: D1340020 00007920
	v_mul_i32_i24_e64 v33, s46, 16                             // 000000007388: D1060021 0001202E
	v_add_u32_e32 v32, v32, v33                                // 000000007390: 68404320
	v_cmp_lt_u32_e64 s[60:61], v32, s64                        // 000000007394: D0C9003C 00008120
	s_nop 1                                                    // 00000000739C: BF800001
	v_cndmask_b32_e64 v44, v127, v44, s[60:61]                 // 0000000073A0: D100002C 00F2597F
	v_cndmask_b32_e64 v45, v127, v45, s[60:61]                 // 0000000073A8: D100002D 00F25B7F
	v_cndmask_b32_e64 v46, v127, v46, s[60:61]                 // 0000000073B0: D100002E 00F25D7F
	v_cndmask_b32_e64 v47, v127, v47, s[60:61]                 // 0000000073B8: D100002F 00F25F7F
	s_branch label_0D05                                        // 0000000073C0: BF820005

00000000000073c4 <label_0D00>:
	v_mov_b32_e32 v44, v127                                    // 0000000073C4: 7E58037F
	v_mov_b32_e32 v45, v127                                    // 0000000073C8: 7E5A037F
	v_mov_b32_e32 v46, v127                                    // 0000000073CC: 7E5C037F
	v_mov_b32_e32 v47, v127                                    // 0000000073D0: 7E5E037F
	s_branch label_0D05                                        // 0000000073D4: BF820000

00000000000073d8 <label_0D05>:
	s_addk_i32 s74, 0x1                                        // 0000000073D8: B74A0001
	s_waitcnt lgkmcnt(8)                                       // 0000000073DC: BF8CC87F
	v_mfma_f32_16x16x32_bf16 v[60:63], v[72:75], a[64:67], 0   // 0000000073E0: D3B5003C 12028148
	v_exp_f32_e32 v36, v36                                     // 0000000073E8: 7E484124
	v_exp_f32_e32 v37, v37                                     // 0000000073EC: 7E4A4125
	v_mfma_f32_16x16x32_bf16 v[60:63], v[76:79], a[68:71], v[60:63]// 0000000073F0: D3B5003C 14F2894C
	v_exp_f32_e32 v38, v38                                     // 0000000073F8: 7E4C4126
	v_exp_f32_e32 v39, v39                                     // 0000000073FC: 7E4E4127
	v_mfma_f32_16x16x32_bf16 v[60:63], v[80:83], a[72:75], v[60:63]// 000000007400: D3B5003C 14F29150
	ds_read_b64_tr_b16 v[224:225], v13 offset:12288            // 000000007408: D9C63000 E000000D
	ds_read_b64_tr_b16 v[226:227], v13 offset:12544            // 000000007410: D9C63100 E200000D
	ds_read_b64_tr_b16 v[228:229], v13 offset:13312            // 000000007418: D9C63400 E400000D
	ds_read_b64_tr_b16 v[230:231], v13 offset:13568            // 000000007420: D9C63500 E600000D
	v_mfma_f32_16x16x32_bf16 v[60:63], v[84:87], a[76:79], v[60:63]// 000000007428: D3B5003C 14F29954
	v_fma_f32 v44, v44, s57, -v104                             // 000000007430: D1CB002C 85A0732C
	v_fma_f32 v45, v45, s57, -v105                             // 000000007438: D1CB002D 85A4732D
	v_exp_f32_e32 v40, v40                                     // 000000007440: 7E504128
	v_exp_f32_e32 v41, v41                                     // 000000007444: 7E524129
	buffer_atomic_pk_add_bf16 v108, v7, s[32:35], 0 offen      // 000000007448: E1481000 80086C07
	v_mfma_f32_16x16x32_bf16 v[64:67], v[72:75], a[80:83], 0   // 000000007450: D3B50040 1202A148
	ds_read_b64_tr_b16 v[232:233], v13 offset:14336            // 000000007458: D9C63800 E800000D
	ds_read_b64_tr_b16 v[234:235], v13 offset:14592            // 000000007460: D9C63900 EA00000D
	ds_read_b64_tr_b16 v[236:237], v13 offset:15360            // 000000007468: D9C63C00 EC00000D
	ds_read_b64_tr_b16 v[238:239], v13 offset:15616            // 000000007470: D9C63D00 EE00000D
	v_mfma_f32_16x16x32_bf16 v[64:67], v[76:79], a[84:87], v[64:67]// 000000007478: D3B50040 1502A94C
	v_fma_f32 v46, v46, s57, -v106                             // 000000007480: D1CB002E 85A8732E
	v_fma_f32 v47, v47, s57, -v107                             // 000000007488: D1CB002F 85AC732F
	v_exp_f32_e32 v42, v42                                     // 000000007490: 7E54412A
	v_exp_f32_e32 v43, v43                                     // 000000007494: 7E56412B
	v_mfma_f32_16x16x32_bf16 v[64:67], v[80:83], a[88:91], v[64:67]// 000000007498: D3B50040 1502B150
	v_exp_f32_e32 v44, v44                                     // 0000000074A0: 7E58412C
	v_exp_f32_e32 v45, v45                                     // 0000000074A4: 7E5A412D
	v_mfma_f32_16x16x32_bf16 v[64:67], v[84:87], a[92:95], v[64:67]// 0000000074A8: D3B50040 1502B954
	v_cvt_pk_bf16_f32 v120, v36, v37                           // 0000000074B0: D2680078 00024B24
	v_cvt_pk_bf16_f32 v121, v38, v39                           // 0000000074B8: D2680079 00024F26
	v_cvt_pk_bf16_f32 v122, v40, v41                           // 0000000074C0: D268007A 00025328
	v_cvt_pk_bf16_f32 v123, v42, v43                           // 0000000074C8: D268007B 0002572A
	v_mfma_f32_16x16x32_bf16 v[68:71], v[72:75], a[96:99], 0   // 0000000074D0: D3B50044 1202C148
	v_exp_f32_e32 v46, v46                                     // 0000000074D8: 7E5C412E
	v_exp_f32_e32 v47, v47                                     // 0000000074DC: 7E5E412F
	v_mfma_f32_16x16x32_bf16 v[68:71], v[76:79], a[100:103], v[68:71]// 0000000074E0: D3B50044 1512C94C
	v_permlane16_swap_b32_e32 v120, v122                       // 0000000074E8: 7EF0B37A
	v_permlane16_swap_b32_e32 v121, v123                       // 0000000074EC: 7EF2B37B
	v_mfma_f32_16x16x32_bf16 v[68:71], v[80:83], a[104:107], v[68:71]// 0000000074F0: D3B50044 1512D150
	ds_read_b64_tr_b16 v[240:241], v13 offset:16384            // 0000000074F8: D9C64000 F000000D
	ds_read_b64_tr_b16 v[242:243], v13 offset:16640            // 000000007500: D9C64100 F200000D
	ds_read_b64_tr_b16 v[244:245], v13 offset:17408            // 000000007508: D9C64400 F400000D
	ds_read_b64_tr_b16 v[246:247], v13 offset:17664            // 000000007510: D9C64500 F600000D
	v_mfma_f32_16x16x32_bf16 v[68:71], v[84:87], a[108:111], v[68:71]// 000000007518: D3B50044 1512D954
	v_cvt_pk_bf16_f32 v124, v44, v45                           // 000000007520: D268007C 00025B2C
	v_cvt_pk_bf16_f32 v125, v46, v47                           // 000000007528: D268007D 00025F2E
	buffer_atomic_pk_add_bf16 v109, v7, s[32:35], 0 offen offset:768// 000000007530: E1481300 80086D07
	s_waitcnt lgkmcnt(12)                                      // 000000007538: BF8CCC7F
	v_mfma_f32_32x32x16_bf16 v[128:143], v[88:91], v[120:123], v[128:143]// 00000000753C: D3B70080 0602F158
	ds_read_b64_tr_b16 a[0:1], v19                             // 000000007544: DBC60000 00000013
	ds_read_b64_tr_b16 a[2:3], v19 offset:256                  // 00000000754C: DBC60100 02000013
	ds_read_b64_tr_b16 a[4:5], v19 offset:12288                // 000000007554: DBC63000 04000013
	ds_read_b64_tr_b16 a[6:7], v19 offset:12544                // 00000000755C: DBC63100 06000013
	ds_read_b64_tr_b16 a[8:9], v19 offset:24576                // 000000007564: DBC66000 08000013
	buffer_atomic_pk_add_bf16 v110, v8, s[32:35], 0 offen      // 00000000756C: E1481000 80086E08
	v_mfma_f32_32x32x16_bf16 v[144:159], v[92:95], v[120:123], v[144:159]// 000000007574: D3B70090 0642F15C
	v_subrev_f32_dpp v60, v126, v60 quad_perm:[0,0,0,0] row_mask:0xf bank_mask:0xf// 00000000757C: 067878FA FF00007E
	v_subrev_f32_dpp v61, v126, v61 quad_perm:[1,1,1,1] row_mask:0xf bank_mask:0xf// 000000007584: 067A7AFA FF00557E
	v_subrev_f32_dpp v62, v126, v62 quad_perm:[2,2,2,2] row_mask:0xf bank_mask:0xf// 00000000758C: 067C7CFA FF00AA7E
	v_subrev_f32_dpp v63, v126, v63 quad_perm:[3,3,3,3] row_mask:0xf bank_mask:0xf// 000000007594: 067E7EFA FF00FF7E
	v_subrev_f32_dpp v64, v126, v64 quad_perm:[0,0,0,0] row_mask:0xf bank_mask:0xf// 00000000759C: 068080FA FF00007E
	v_subrev_f32_dpp v65, v126, v65 quad_perm:[1,1,1,1] row_mask:0xf bank_mask:0xf// 0000000075A4: 068282FA FF00557E
	v_subrev_f32_dpp v66, v126, v66 quad_perm:[2,2,2,2] row_mask:0xf bank_mask:0xf// 0000000075AC: 068484FA FF00AA7E
	v_subrev_f32_dpp v67, v126, v67 quad_perm:[3,3,3,3] row_mask:0xf bank_mask:0xf// 0000000075B4: 068686FA FF00FF7E
	v_mul_f32_e32 v60, v36, v60                                // 0000000075BC: 0A787924
	v_mul_f32_e32 v61, v37, v61                                // 0000000075C0: 0A7A7B25
	v_mul_f32_e32 v62, v38, v62                                // 0000000075C4: 0A7C7D26
	v_mul_f32_e32 v63, v39, v63                                // 0000000075C8: 0A7E7F27
	v_mfma_f32_32x32x16_bf16 v[160:175], v[96:99], v[120:123], v[160:175]// 0000000075CC: D3B700A0 0682F160
	ds_read_b64_tr_b16 a[10:11], v19 offset:24832              // 0000000075D4: DBC66100 0A000013
	ds_read_b64_tr_b16 a[12:13], v19 offset:36864              // 0000000075DC: DBC69000 0C000013
	ds_read_b64_tr_b16 a[14:15], v19 offset:37120              // 0000000075E4: DBC69100 0E000013
	ds_read_b64_tr_b16 a[16:17], v19 offset:49152              // 0000000075EC: DBC6C000 10000013
	ds_read_b64_tr_b16 a[18:19], v19 offset:49408              // 0000000075F4: DBC6C100 12000013
	ds_read_b32 v104, v16 offset:37632                         // 0000000075FC: D86C9300 68000010
	v_mfma_f32_32x32x16_bf16 v[176:191], v[100:103], v[120:123], v[176:191]// 000000007604: D3B700B0 06C2F164
	v_mul_f32_e32 v64, v40, v64                                // 00000000760C: 0A808128
	v_mul_f32_e32 v65, v41, v65                                // 000000007610: 0A828329
	v_mul_f32_e32 v66, v42, v66                                // 000000007614: 0A84852A
	v_mul_f32_e32 v67, v43, v67                                // 000000007618: 0A86872B
	v_permlane16_swap_b32_e32 v88, v90                         // 00000000761C: 7EB0B35A
	v_permlane16_swap_b32_e32 v89, v91                         // 000000007620: 7EB2B35B
	v_cvt_pk_bf16_f32 v60, v60, v61                            // 000000007624: D268003C 00027B3C
	v_cvt_pk_bf16_f32 v61, v62, v63                            // 00000000762C: D268003D 00027F3E
	v_cvt_pk_bf16_f32 v62, v64, v65                            // 000000007634: D268003E 00028340
	v_cvt_pk_bf16_f32 v63, v66, v67                            // 00000000763C: D268003F 00028742
	v_permlane16_swap_b32_e32 v92, v94                         // 000000007644: 7EB8B35E
	v_permlane16_swap_b32_e32 v93, v95                         // 000000007648: 7EBAB35F
	v_mfma_f32_16x16x16_bf16 v[192:195], v[88:89], v[124:125], v[192:195]// 00000000764C: D3E100C0 0702F958
	buffer_atomic_pk_add_bf16 v111, v8, s[32:35], 0 offen offset:768// 000000007654: E1481300 80086F08
	ds_write_b64 v15, v[60:61] offset:30720                    // 00000000765C: D89A7800 00003C0F
	ds_write_b64 v15, v[62:63] offset:33024                    // 000000007664: D89A8100 00003E0F
	v_mfma_f32_16x16x16_bf16 v[196:199], v[90:91], v[124:125], v[196:199]// 00000000766C: D3E100C4 0712F95A
	v_permlane16_swap_b32_e32 v96, v98                         // 000000007674: 7EC0B362
	v_permlane16_swap_b32_e32 v97, v99                         // 000000007678: 7EC2B363
	v_subrev_f32_dpp v68, v126, v68 quad_perm:[0,0,0,0] row_mask:0xf bank_mask:0xf// 00000000767C: 068888FA FF00007E
	v_subrev_f32_dpp v69, v126, v69 quad_perm:[1,1,1,1] row_mask:0xf bank_mask:0xf// 000000007684: 068A8AFA FF00557E
	v_mfma_f32_16x16x16_bf16 v[200:203], v[92:93], v[124:125], v[200:203]// 00000000768C: D3E100C8 0722F95C
	v_permlane16_swap_b32_e32 v100, v102                       // 000000007694: 7EC8B366
	v_permlane16_swap_b32_e32 v101, v103                       // 000000007698: 7ECAB367
	v_subrev_f32_dpp v70, v126, v70 quad_perm:[2,2,2,2] row_mask:0xf bank_mask:0xf// 00000000769C: 068C8CFA FF00AA7E
	v_subrev_f32_dpp v71, v126, v71 quad_perm:[3,3,3,3] row_mask:0xf bank_mask:0xf// 0000000076A4: 068E8EFA FF00FF7E
	v_mfma_f32_16x16x16_bf16 v[204:207], v[94:95], v[124:125], v[204:207]// 0000000076AC: D3E100CC 0732F95E
	v_permlane16_swap_b32_e32 v60, v62                         // 0000000076B4: 7E78B33E
	v_permlane16_swap_b32_e32 v61, v63                         // 0000000076B8: 7E7AB33F
	v_mfma_f32_16x16x16_bf16 v[208:211], v[96:97], v[124:125], v[208:211]// 0000000076BC: D3E100D0 0742F960
	ds_read_b64_tr_b16 a[20:21], v19 offset:61440              // 0000000076C4: DBC6F000 14000013
	ds_read_b64_tr_b16 a[22:23], v19 offset:61696              // 0000000076CC: DBC6F100 16000013
	ds_read_b64_tr_b16 a[24:25], v20                           // 0000000076D4: DBC60000 18000014
	v_mfma_f32_16x16x16_bf16 v[212:215], v[98:99], v[124:125], v[212:215]// 0000000076DC: D3E100D4 0752F962
	v_mul_f32_e32 v68, v44, v68                                // 0000000076E4: 0A88892C
	v_mul_f32_e32 v69, v45, v69                                // 0000000076E8: 0A8A8B2D
	v_mul_f32_e32 v70, v46, v70                                // 0000000076EC: 0A8C8D2E
	v_mfma_f32_16x16x16_bf16 v[216:219], v[100:101], v[124:125], v[216:219]// 0000000076F0: D3E100D8 0762F964
	ds_read_b32 v126, v16 offset:37888                         // 0000000076F8: D86C9400 7E000010
	ds_read_b64_tr_b16 a[26:27], v20 offset:256                // 000000007700: DBC60100 1A000014
	ds_read_b64_tr_b16 a[28:29], v20 offset:12288              // 000000007708: DBC63000 1C000014
	v_mfma_f32_16x16x16_bf16 v[220:223], v[102:103], v[124:125], v[220:223]// 000000007710: D3E100DC 0772F966
	v_mul_f32_e32 v71, v47, v71                                // 000000007718: 0A8E8F2F
	v_cvt_pk_bf16_f32 v64, v68, v69                            // 00000000771C: D2680040 00028B44
	v_cvt_pk_bf16_f32 v65, v70, v71                            // 000000007724: D2680041 00028F46
	s_waitcnt lgkmcnt(8)                                       // 00000000772C: BF8CC87F
	v_mfma_f32_32x32x16_bf16 a[112:127], v[224:227], v[60:63], a[112:127]// 000000007730: D3B78070 05C279E0
	ds_read_b64_tr_b16 a[30:31], v20 offset:12544              // 000000007738: DBC63100 1E000014
	ds_write_b64 v15, v[64:65] offset:35328                    // 000000007740: D89A8A00 0000400F
	ds_read_b64_tr_b16 a[32:33], v20 offset:24576              // 000000007748: DBC66000 20000014
	ds_read_b64_tr_b16 a[34:35], v20 offset:24832              // 000000007750: DBC66100 22000014
	v_mfma_f32_32x32x16_bf16 a[128:143], v[228:231], v[60:63], a[128:143]// 000000007758: D3B78080 060279E4
	v_cmp_eq_f32_e32 vcc, v127, v104                           // 000000007760: 7C84D17F
	v_cndmask_b32_e64 v104, v104, 0, vcc                       // 000000007764: D1000068 01A90168
	v_mul_f32_e32 v104, s48, v104                              // 00000000776C: 0AD0D030
	buffer_atomic_pk_add_bf16 v112, v9, s[32:35], 0 offen      // 000000007770: E1481000 80087009
	v_mfma_f32_32x32x16_bf16 a[144:159], v[232:235], v[60:63], a[144:159]// 000000007778: D3B78090 064279E8
	ds_read_b64_tr_b16 a[36:37], v20 offset:36864              // 000000007780: DBC69000 24000014
	ds_read_b64_tr_b16 a[38:39], v20 offset:37120              // 000000007788: DBC69100 26000014
	ds_read_b64_tr_b16 a[40:41], v20 offset:49152              // 000000007790: DBC6C000 28000014
	ds_read_b64_tr_b16 a[42:43], v20 offset:49408              // 000000007798: DBC6C100 2A000014
	ds_read_b64_tr_b16 a[44:45], v20 offset:61440              // 0000000077A0: DBC6F000 2C000014
	ds_read_b64_tr_b16 a[46:47], v20 offset:61696              // 0000000077A8: DBC6F100 2E000014
	v_mfma_f32_32x32x16_bf16 a[160:175], v[236:239], v[60:63], a[160:175]// 0000000077B0: D3B780A0 068279EC
	.long 0x7fc0b3e2                                           // 0000000077B8: 7FC0B3E2
	.long 0x7fc2b3e3                                           // 0000000077BC: 7FC2B3E3
	s_waitcnt lgkmcnt(8)                                       // 0000000077C0: BF8CC87F
	s_barrier                                                  // 0000000077C4: BF8A0000
	v_mfma_f32_32x32x16_bf16 a[176:191], v[240:243], v[60:63], a[176:191]// 0000000077C8: D3B780B0 06C279F0
	ds_read_b64_tr_b16 v[36:37], v14 offset:30720              // 0000000077D0: D9C67800 2400000E
	ds_read_b64_tr_b16 v[38:39], v14 offset:30752              // 0000000077D8: D9C67820 2600000E
	ds_read_b64_tr_b16 v[40:41], v14 offset:31872              // 0000000077E0: D9C67C80 2800000E
	ds_read_b64_tr_b16 v[42:43], v14 offset:31904              // 0000000077E8: D9C67CA0 2A00000E
	ds_read_b64_tr_b16 v[44:45], v14 offset:33024              // 0000000077F0: D9C68100 2C00000E
	ds_read_b64_tr_b16 v[46:47], v14 offset:33056              // 0000000077F8: D9C68120 2E00000E
	v_mfma_f32_32x32x16_bf16 a[192:207], v[244:247], v[60:63], a[192:207]// 000000007800: D3B780C0 070279F4
	.long 0x7fc8b3e6                                           // 000000007808: 7FC8B3E6
	.long 0x7fcab3e7                                           // 00000000780C: 7FCAB3E7
	v_mov_b32_dpp v107, v104 quad_perm:[3,3,3,3] row_mask:0xf bank_mask:0xf// 000000007810: 7ED602FA FF00FF68
	v_mov_b32_dpp v106, v104 quad_perm:[2,2,2,2] row_mask:0xf bank_mask:0xf// 000000007818: 7ED402FA FF00AA68
	v_mfma_f32_16x16x16_bf16 a[208:211], v[224:225], v[64:65], a[208:211]// 000000007820: D3E180D0 074281E0
	ds_read_b64_tr_b16 v[48:49], v14 offset:34176              // 000000007828: D9C68580 3000000E
	ds_read_b64_tr_b16 v[50:51], v14 offset:34208              // 000000007830: D9C685A0 3200000E
	ds_read_b64_tr_b16 v[52:53], v14 offset:35328              // 000000007838: D9C68A00 3400000E
	v_mfma_f32_16x16x16_bf16 a[212:215], v[226:227], v[64:65], a[212:215]// 000000007840: D3E180D4 075281E2
	.long 0x7fd0b3ea                                           // 000000007848: 7FD0B3EA
	.long 0x7fd2b3eb                                           // 00000000784C: 7FD2B3EB
	v_mfma_f32_16x16x16_bf16 a[216:219], v[228:229], v[64:65], a[216:219]// 000000007850: D3E180D8 076281E4
	ds_read_b64_tr_b16 v[54:55], v14 offset:35360              // 000000007858: D9C68A20 3600000E
	ds_read_b64_tr_b16 v[56:57], v14 offset:36480              // 000000007860: D9C68E80 3800000E
	ds_read_b64_tr_b16 v[58:59], v14 offset:36512              // 000000007868: D9C68EA0 3A00000E
	v_mfma_f32_16x16x16_bf16 a[220:223], v[230:231], v[64:65], a[220:223]// 000000007870: D3E180DC 077281E6
	v_permlane16_swap_b32_e32 v236, v238                       // 000000007878: 7FD8B3EE
	v_permlane16_swap_b32_e32 v237, v239                       // 00000000787C: 7FDAB3EF
	v_mfma_f32_16x16x16_bf16 a[224:227], v[232:233], v[64:65], a[224:227]// 000000007880: D3E180E0 078281E8
	ds_read_b64_tr_b16 a[48:49], v21                           // 000000007888: DBC60000 30000015
	ds_read_b64_tr_b16 a[50:51], v21 offset:256                // 000000007890: DBC60100 32000015
	ds_read_b64_tr_b16 a[52:53], v21 offset:12288              // 000000007898: DBC63000 34000015
	v_mfma_f32_16x16x16_bf16 a[228:231], v[234:235], v[64:65], a[228:231]// 0000000078A0: D3E180E4 079281EA
	v_permlane16_swap_b32_e32 v240, v242                       // 0000000078A8: 7FE0B3F2
	v_permlane16_swap_b32_e32 v241, v243                       // 0000000078AC: 7FE2B3F3
	v_mfma_f32_16x16x16_bf16 a[232:235], v[236:237], v[64:65], a[232:235]// 0000000078B0: D3E180E8 07A281EC
	ds_read_b64_tr_b16 a[54:55], v21 offset:12544              // 0000000078B8: DBC63100 36000015
	ds_read_b64_tr_b16 a[56:57], v21 offset:24576              // 0000000078C0: DBC66000 38000015
	ds_read_b64_tr_b16 a[58:59], v21 offset:24832              // 0000000078C8: DBC66100 3A000015
	v_mfma_f32_16x16x16_bf16 a[236:239], v[238:239], v[64:65], a[236:239]// 0000000078D0: D3E180EC 07B281EE
	v_permlane16_swap_b32_e32 v244, v246                       // 0000000078D8: 7FE8B3F6
	v_permlane16_swap_b32_e32 v245, v247                       // 0000000078DC: 7FEAB3F7
	v_mfma_f32_16x16x16_bf16 a[240:243], v[240:241], v[64:65], a[240:243]// 0000000078E0: D3E180F0 07C281F0
	ds_read_b64_tr_b16 a[60:61], v21 offset:36864              // 0000000078E8: DBC69000 3C000015
	ds_read_b64_tr_b16 a[62:63], v21 offset:37120              // 0000000078F0: DBC69100 3E000015
	ds_read_b64_tr_b16 v[248:249], v21 offset:49152            // 0000000078F8: D9C6C000 F8000015
	v_mfma_f32_16x16x16_bf16 a[244:247], v[242:243], v[64:65], a[244:247]// 000000007900: D3E180F4 07D281F2
	v_mov_b32_dpp v105, v104 quad_perm:[1,1,1,1] row_mask:0xf bank_mask:0xf// 000000007908: 7ED202FA FF005568
	buffer_atomic_pk_add_bf16 v113, v9, s[32:35], 0 offen offset:768// 000000007910: E1481300 80087109
	v_mfma_f32_16x16x16_bf16 a[248:251], v[244:245], v[64:65], a[248:251]// 000000007918: D3E180F8 07E281F4
	ds_read_b64_tr_b16 v[250:251], v21 offset:49408            // 000000007920: D9C6C100 FA000015
	ds_read_b64_tr_b16 v[252:253], v21 offset:61440            // 000000007928: D9C6F000 FC000015
	ds_read_b64_tr_b16 v[254:255], v21 offset:61696            // 000000007930: D9C6F100 FE000015
	v_mfma_f32_16x16x16_bf16 a[252:255], v[246:247], v[64:65], a[252:255]// 000000007938: D3E180FC 07F281F6
	v_mov_b32_dpp v104, v104 quad_perm:[0,0,0,0] row_mask:0xf bank_mask:0xf// 000000007940: 7ED002FA FF000068
	s_waitcnt vmcnt(6) lgkmcnt(6)                              // 000000007948: BF8C0676
	s_barrier                                                  // 00000000794C: BF8A0000
	v_mfma_f32_16x16x32_bf16 v[108:111], a[0:3], v[36:39], 0   // 000000007950: D3B5006C 0A024900
	ds_read_b128 v[224:227], v12                               // 000000007958: D9FE0000 E000000C
	ds_read_b128 v[228:231], v12 offset:1024                   // 000000007960: D9FE0400 E400000C
	v_mfma_f32_16x16x32_bf16 v[108:111], a[4:7], v[40:43], v[108:111]// 000000007968: D3B5006C 0DB25104
	s_mov_b32 m0, s87                                          // 000000007970: BEFC0057
	buffer_load_dwordx4 v1, s[8:11], 0 idxen lds               // 000000007974: E05D2000 80020001
	v_mfma_f32_16x16x32_bf16 v[108:111], a[8:11], v[44:47], v[108:111]// 00000000797C: D3B5006C 0DB25908
	ds_read_b128 v[232:235], v12 offset:2048                   // 000000007984: D9FE0800 E800000C
	ds_read_b128 v[236:239], v12 offset:3072                   // 00000000798C: D9FE0C00 EC00000C
	v_mfma_f32_16x16x32_bf16 v[108:111], a[12:15], v[48:51], v[108:111]// 000000007994: D3B5006C 0DB2610C
	s_mov_b32 m0, s88                                          // 00000000799C: BEFC0058
	buffer_load_dword v2, s[8:11], 0 idxen lds                 // 0000000079A0: E0512000 80020002
	v_mfma_f32_16x16x32_bf16 v[108:111], a[16:19], v[52:55], v[108:111]// 0000000079A8: D3B5006C 0DB26910
	ds_read_b128 v[240:243], v12 offset:4096                   // 0000000079B0: D9FE1000 F000000C
	ds_read_b128 v[244:247], v12 offset:5120                   // 0000000079B8: D9FE1400 F400000C
	v_mfma_f32_16x16x32_bf16 v[108:111], a[20:23], v[56:59], v[108:111]// 0000000079C0: D3B5006C 0DB27114
	s_mov_b32 m0, s89                                          // 0000000079C8: BEFC0059
	buffer_load_dword v3, s[8:11], 0 idxen lds                 // 0000000079CC: E0512000 80020003
	v_mfma_f32_16x16x32_bf16 v[112:115], a[24:27], v[36:39], 0 // 0000000079D4: D3B50070 0A024918
	ds_read_b128 a[0:3], v17                                   // 0000000079DC: DBFE0000 00000011
	ds_read_b128 a[4:7], v17 offset:1024                       // 0000000079E4: DBFE0400 04000011
	v_mfma_f32_16x16x32_bf16 v[112:115], a[28:31], v[40:43], v[112:115]// 0000000079EC: D3B50070 0DC2511C
	s_mov_b32 m0, s101                                         // 0000000079F4: BEFC0065
	buffer_load_dwordx4 v4, s[20:23], 0 idxen lds              // 0000000079F8: E05D2000 80050004
	v_mfma_f32_16x16x32_bf16 v[112:115], a[32:35], v[44:47], v[112:115]// 000000007A00: D3B50070 0DC25920
	ds_read_b128 a[8:11], v17 offset:2048                      // 000000007A08: DBFE0800 08000011
	ds_read_b128 a[12:15], v17 offset:3072                     // 000000007A10: DBFE0C00 0C000011
	v_mfma_f32_16x16x32_bf16 v[112:115], a[36:39], v[48:51], v[112:115]// 000000007A18: D3B50070 0DC26124
	v_mul_f32_e32 v108, s47, v108                              // 000000007A20: 0AD8D82F
	v_mul_f32_e32 v109, s47, v109                              // 000000007A24: 0ADADA2F
	s_mov_b32 m0, s80                                          // 000000007A28: BEFC0050
	buffer_load_dword v11, s[24:27], 0 idxen lds               // 000000007A2C: E0512000 8006000B
	v_mfma_f32_16x16x32_bf16 v[112:115], a[40:43], v[52:55], v[112:115]// 000000007A34: D3B50070 0DC26928
	ds_read_b128 a[16:19], v17 offset:4096                     // 000000007A3C: DBFE1000 10000011
	ds_read_b128 a[20:23], v17 offset:5120                     // 000000007A44: DBFE1400 14000011
	v_mfma_f32_16x16x32_bf16 v[112:115], a[44:47], v[56:59], v[112:115]// 000000007A4C: D3B50070 0DC2712C
	s_add_u32 s60, 64, s59                                     // 000000007A54: 803C3BC0
	s_cmp_lt_u32 s60, s58                                      // 000000007A58: BF0A3A3C
	s_cselect_b32 s68, s68, 0                                  // 000000007A5C: 85448044
	s_cselect_b32 s98, s98, 0                                  // 000000007A60: 85628062
	s_cselect_b32 s69, s69, 0                                  // 000000007A64: 85458045
	v_mfma_f32_16x16x32_bf16 v[116:119], a[48:51], v[36:39], 0 // 000000007A68: D3B50074 0A024930
	ds_read_b128 a[24:27], v17 offset:24576                    // 000000007A70: DBFE6000 18000011
	ds_read_b128 a[28:31], v17 offset:25600                    // 000000007A78: DBFE6400 1C000011
	v_mfma_f32_16x16x32_bf16 v[116:119], a[52:55], v[40:43], v[116:119]// 000000007A80: D3B50074 0DD25134
	v_add_u32_e32 v1, s68, v1                                  // 000000007A88: 68020244
	v_add_u32_e32 v2, s68, v2                                  // 000000007A8C: 68040444
	v_add_u32_e32 v3, s68, v3                                  // 000000007A90: 68060644
	v_add_u32_e32 v4, s98, v4                                  // 000000007A94: 68080862
	v_add_u32_e32 v11, s69, v11                                // 000000007A98: 68161645
	s_waitcnt lgkmcnt(14)                                      // 000000007A9C: BF8CCE7F
	v_mfma_f32_16x16x32_bf16 v[116:119], a[56:59], v[44:47], v[116:119]// 000000007AA0: D3B50074 0DD25938
	ds_read_b128 a[32:35], v17 offset:26624                    // 000000007AA8: DBFE6800 20000011
	ds_read_b128 a[36:39], v17 offset:27648                    // 000000007AB0: DBFE6C00 24000011
	v_mfma_f32_16x16x32_bf16 v[116:119], a[60:63], v[48:51], v[116:119]// 000000007AB8: D3B50074 0DD2613C
	v_mul_f32_e32 v110, s47, v110                              // 000000007AC0: 0ADCDC2F
	v_mul_f32_e32 v111, s47, v111                              // 000000007AC4: 0ADEDE2F
	s_cmp_ge_u32 s59, s73                                      // 000000007AC8: BF09493B
	s_cselect_b32 s66, s67, s66                                // 000000007ACC: 85424243
	v_mfma_f32_16x16x32_bf16 v[116:119], v[248:251], v[52:55], v[116:119]// 000000007AD0: D3B50074 05D269F8
	ds_read_b128 a[40:43], v17 offset:28672                    // 000000007AD8: DBFE7000 28000011
	ds_read_b128 a[44:47], v17 offset:29696                    // 000000007AE0: DBFE7400 2C000011
	v_mfma_f32_16x16x32_bf16 v[116:119], v[252:255], v[56:59], v[116:119]// 000000007AE8: D3B50074 05D271FC
	s_addk_i32 s59, 0x10                                       // 000000007AF0: B73B0010
	v_mul_f32_e32 v112, s47, v112                              // 000000007AF4: 0AE0E02F
	v_mul_f32_e32 v113, s47, v113                              // 000000007AF8: 0AE2E22F
	s_cmp_lt_i32 s59, s58                                      // 000000007AFC: BF043A3B
	s_cbranch_scc0 label_0ED1                                  // 000000007B00: BF840001
	s_branch label_0657                                        // 000000007B04: BF82F795

0000000000007b08 <label_0ED1>:
	s_nop 0                                                    // 000000007B08: BF800000
	s_nop 0                                                    // 000000007B0C: BF800000
	s_branch label_174E                                        // 000000007B10: BF82086B

0000000000007b14 <label_0ED4>:
	s_waitcnt lgkmcnt(2)                                       // 000000007B14: BF8CC27F
	v_mfma_f32_16x16x32_bf16 v[36:39], v[224:227], a[0:3], 0   // 000000007B18: D3B50024 120201E0
	v_add_u32_e32 v7, s66, v7                                  // 000000007B20: 680E0E42
	v_add_u32_e32 v8, s66, v8                                  // 000000007B24: 68101042
	v_add_u32_e32 v9, s66, v9                                  // 000000007B28: 68121242
	v_mfma_f32_16x16x32_bf16 v[36:39], v[228:231], a[4:7], v[36:39]// 000000007B2C: D3B50024 149209E4
	ds_read_b128 a[48:51], v17 offset:49152                    // 000000007B34: DBFEC000 30000011
	ds_read_b128 a[52:55], v17 offset:50176                    // 000000007B3C: DBFEC400 34000011
	v_mfma_f32_16x16x32_bf16 v[36:39], v[232:235], a[8:11], v[36:39]// 000000007B44: D3B50024 149211E8
	v_cvt_pk_bf16_f32 v108, v108, v109                         // 000000007B4C: D268006C 0002DB6C
	v_cvt_pk_bf16_f32 v109, v110, v111                         // 000000007B54: D268006D 0002DF6E
	v_mfma_f32_16x16x32_bf16 v[36:39], v[236:239], a[12:15], v[36:39]// 000000007B5C: D3B50024 149219EC
	ds_read_b128 a[56:59], v17 offset:51200                    // 000000007B64: DBFEC800 38000011
	ds_read_b128 a[60:63], v17 offset:52224                    // 000000007B6C: DBFECC00 3C000011
	v_mfma_f32_16x16x32_bf16 v[36:39], v[240:243], a[16:19], v[36:39]// 000000007B74: D3B50024 149221F0
	v_mul_f32_e32 v114, s47, v114                              // 000000007B7C: 0AE4E42F
	v_mul_f32_e32 v115, s47, v115                              // 000000007B80: 0AE6E62F
	v_mfma_f32_16x16x32_bf16 v[36:39], v[244:247], a[20:23], v[36:39]// 000000007B84: D3B50024 149229F4
	ds_read_b128 v[248:251], v17 offset:53248                  // 000000007B8C: D9FED000 F8000011
	ds_read_b128 v[252:255], v17 offset:54272                  // 000000007B94: D9FED400 FC000011
	v_mfma_f32_16x16x32_bf16 v[40:43], v[224:227], a[24:27], 0 // 000000007B9C: D3B50028 120231E0
	v_mul_f32_e32 v116, s47, v116                              // 000000007BA4: 0AE8E82F
	v_mul_f32_e32 v117, s47, v117                              // 000000007BA8: 0AEAEA2F
	v_mfma_f32_16x16x32_bf16 v[40:43], v[228:231], a[28:31], v[40:43]// 000000007BAC: D3B50028 14A239E4
	ds_read_b128 v[72:75], v12 offset:18432                    // 000000007BB4: D9FE4800 4800000C
	ds_read_b128 v[76:79], v12 offset:19456                    // 000000007BBC: D9FE4C00 4C00000C
	v_mfma_f32_16x16x32_bf16 v[40:43], v[232:235], a[32:35], v[40:43]// 000000007BC4: D3B50028 14A241E8
	v_mul_f32_e32 v118, s47, v118                              // 000000007BCC: 0AECEC2F
	v_mul_f32_e32 v119, s47, v119                              // 000000007BD0: 0AEEEE2F
	v_cvt_pk_bf16_f32 v110, v112, v113                         // 000000007BD4: D268006E 0002E370
	v_cvt_pk_bf16_f32 v111, v114, v115                         // 000000007BDC: D268006F 0002E772
	v_mfma_f32_16x16x32_bf16 v[40:43], v[236:239], a[36:39], v[40:43]// 000000007BE4: D3B50028 14A249EC
	ds_read_b128 v[80:83], v12 offset:20480                    // 000000007BEC: D9FE5000 5000000C
	ds_read_b128 v[84:87], v12 offset:21504                    // 000000007BF4: D9FE5400 5400000C
	s_waitcnt lgkmcnt(10)                                      // 000000007BFC: BF8CCA7F
	v_mfma_f32_16x16x32_bf16 v[40:43], v[240:243], a[40:43], v[40:43]// 000000007C00: D3B50028 14A251F0
	v_fma_f32 v36, v36, s57, -v104                             // 000000007C08: D1CB0024 85A07324
	v_fma_f32 v37, v37, s57, -v105                             // 000000007C10: D1CB0025 85A47325
	v_mfma_f32_16x16x32_bf16 v[40:43], v[244:247], a[44:47], v[40:43]// 000000007C18: D3B50028 14A259F4
	ds_read_b64_tr_b16 v[88:89], v13 offset:18432              // 000000007C20: D9C64800 5800000D
	ds_read_b64_tr_b16 v[90:91], v13 offset:18688              // 000000007C28: D9C64900 5A00000D
	s_waitcnt lgkmcnt(10)                                      // 000000007C30: BF8CCA7F
	v_mfma_f32_16x16x32_bf16 v[44:47], v[224:227], a[48:51], 0 // 000000007C34: D3B5002C 120261E0
	v_fma_f32 v38, v38, s57, -v106                             // 000000007C3C: D1CB0026 85A87326
	v_fma_f32 v39, v39, s57, -v107                             // 000000007C44: D1CB0027 85AC7327
	v_mfma_f32_16x16x32_bf16 v[44:47], v[228:231], a[52:55], v[44:47]// 000000007C4C: D3B5002C 14B269E4
	ds_read_b64_tr_b16 v[92:93], v13 offset:19456              // 000000007C54: D9C64C00 5C00000D
	ds_read_b64_tr_b16 v[94:95], v13 offset:19712              // 000000007C5C: D9C64D00 5E00000D
	s_waitcnt lgkmcnt(10)                                      // 000000007C64: BF8CCA7F
	v_mfma_f32_16x16x32_bf16 v[44:47], v[232:235], a[56:59], v[44:47]// 000000007C68: D3B5002C 14B271E8
	v_fma_f32 v40, v40, s57, -v104                             // 000000007C70: D1CB0028 85A07328
	v_fma_f32 v41, v41, s57, -v105                             // 000000007C78: D1CB0029 85A47329
	v_cvt_pk_bf16_f32 v112, v116, v117                         // 000000007C80: D2680070 0002EB74
	v_cvt_pk_bf16_f32 v113, v118, v119                         // 000000007C88: D2680071 0002EF76
	v_mfma_f32_16x16x32_bf16 v[44:47], v[236:239], a[60:63], v[44:47]// 000000007C90: D3B5002C 14B279EC
	ds_read_b64_tr_b16 v[96:97], v13 offset:20480              // 000000007C98: D9C65000 6000000D
	ds_read_b64_tr_b16 v[98:99], v13 offset:20736              // 000000007CA0: D9C65100 6200000D
	s_waitcnt lgkmcnt(10)                                      // 000000007CA8: BF8CCA7F
	v_mfma_f32_16x16x32_bf16 v[44:47], v[240:243], v[248:251], v[44:47]// 000000007CAC: D3B5002C 04B3F1F0
	v_fma_f32 v42, v42, s57, -v106                             // 000000007CB4: D1CB002A 85A8732A
	v_fma_f32 v43, v43, s57, -v107                             // 000000007CBC: D1CB002B 85AC732B
	v_mfma_f32_16x16x32_bf16 v[44:47], v[244:247], v[252:255], v[44:47]// 000000007CC4: D3B5002C 04B3F9F4
	ds_read_b64_tr_b16 v[100:101], v13 offset:21504            // 000000007CCC: D9C65400 6400000D
	ds_read_b64_tr_b16 v[102:103], v13 offset:21760            // 000000007CD4: D9C65500 6600000D
	s_cmp_eq_i32 s90, 0                                        // 000000007CDC: BF00805A
	s_cbranch_scc1 label_0FDC                                  // 000000007CE0: BF85008F
	s_cmp_lt_i32 s74, 13                                       // 000000007CE4: BF048D4A
	s_cbranch_scc0 label_0F87                                  // 000000007CE8: BF84003D
	s_lshl_b32 s60, s74, 4                                     // 000000007CEC: 8E3C844A
	v_sub_i32 v32, v24, s60                                    // 000000007CF0: D29D0020 00007918
	s_mov_b32 s61, 0                                           // 000000007CF8: BEBD0080
	v_add_i32 v33, v32, s61                                    // 000000007CFC: D29C0021 00007B20
	v_cmp_gt_i32_e64 s[60:61], v33, 0                          // 000000007D04: D0C4003C 00010121
	v_cmp_gt_i32_e64 s[92:93], v33, 1                          // 000000007D0C: D0C4005C 00010321
	v_cndmask_b32_e64 v36, v36, v127, s[60:61]                 // 000000007D14: D1000024 00F2FF24
	v_cndmask_b32_e64 v37, v37, v127, s[92:93]                 // 000000007D1C: D1000025 0172FF25
	v_cmp_gt_i32_e64 s[60:61], v33, 2                          // 000000007D24: D0C4003C 00010521
	v_cmp_gt_i32_e64 s[92:93], v33, 3                          // 000000007D2C: D0C4005C 00010721
	v_cndmask_b32_e64 v38, v38, v127, s[60:61]                 // 000000007D34: D1000026 00F2FF26
	v_cndmask_b32_e64 v39, v39, v127, s[92:93]                 // 000000007D3C: D1000027 0172FF27
	s_mov_b32 s61, 64                                          // 000000007D44: BEBD00C0
	v_add_i32 v33, v32, s61                                    // 000000007D48: D29C0021 00007B20
	v_cmp_gt_i32_e64 s[60:61], v33, 0                          // 000000007D50: D0C4003C 00010121
	v_cmp_gt_i32_e64 s[92:93], v33, 1                          // 000000007D58: D0C4005C 00010321
	v_cndmask_b32_e64 v40, v40, v127, s[60:61]                 // 000000007D60: D1000028 00F2FF28
	v_cndmask_b32_e64 v41, v41, v127, s[92:93]                 // 000000007D68: D1000029 0172FF29
	v_cmp_gt_i32_e64 s[60:61], v33, 2                          // 000000007D70: D0C4003C 00010521
	v_cmp_gt_i32_e64 s[92:93], v33, 3                          // 000000007D78: D0C4005C 00010721
	v_cndmask_b32_e64 v42, v42, v127, s[60:61]                 // 000000007D80: D100002A 00F2FF2A
	v_cndmask_b32_e64 v43, v43, v127, s[92:93]                 // 000000007D88: D100002B 0172FF2B
	s_mov_b32 s61, 0x80                                        // 000000007D90: BEBD00FF 00000080
	v_add_i32 v33, v32, s61                                    // 000000007D98: D29C0021 00007B20
	v_cmp_gt_i32_e64 s[60:61], v33, 0                          // 000000007DA0: D0C4003C 00010121
	v_cmp_gt_i32_e64 s[92:93], v33, 1                          // 000000007DA8: D0C4005C 00010321
	v_cndmask_b32_e64 v44, v44, v127, s[60:61]                 // 000000007DB0: D100002C 00F2FF2C
	v_cndmask_b32_e64 v45, v45, v127, s[92:93]                 // 000000007DB8: D100002D 0172FF2D
	v_cmp_gt_i32_e64 s[60:61], v33, 2                          // 000000007DC0: D0C4003C 00010521
	v_cmp_gt_i32_e64 s[92:93], v33, 3                          // 000000007DC8: D0C4005C 00010721
	v_cndmask_b32_e64 v46, v46, v127, s[60:61]                 // 000000007DD0: D100002E 00F2FF2E
	v_cndmask_b32_e64 v47, v47, v127, s[92:93]                 // 000000007DD8: D100002F 0172FF2F

0000000000007de0 <label_0F87>:
	s_cmp_lt_i32 s64, 0xc0                                     // 000000007DE0: BF04FF40 000000C0
	s_cbranch_scc0 label_0FDC                                  // 000000007DE8: BF84004D
	s_cmp_le_i32 s64, 64                                       // 000000007DEC: BF05C040
	s_cbranch_scc1 label_0F93                                  // 000000007DF0: BF850007
	s_cmp_le_i32 s64, 0x80                                     // 000000007DF4: BF05FF40 00000080
	s_cbranch_scc1 label_0FAB                                  // 000000007DFC: BF850017
	s_cmp_lt_i32 s64, 0xc0                                     // 000000007E00: BF04FF40 000000C0
	s_cbranch_scc1 label_0FC3                                  // 000000007E08: BF85002C
	s_branch label_0FDC                                        // 000000007E0C: BF820044

0000000000007e10 <label_0F93>:
	s_mov_b32 s60, 0                                           // 000000007E10: BEBC0080
	v_and_b32_e32 v32, 15, v0                                  // 000000007E14: 2640008F
	v_add_u32_e64 v32, v32, s60                                // 000000007E18: D1340020 00007920
	v_mul_i32_i24_e64 v33, s46, 16                             // 000000007E20: D1060021 0001202E
	v_add_u32_e32 v32, v32, v33                                // 000000007E28: 68404320
	v_cmp_lt_u32_e64 s[60:61], v32, s64                        // 000000007E2C: D0C9003C 00008120
	s_nop 1                                                    // 000000007E34: BF800001
	v_cndmask_b32_e64 v36, v127, v36, s[60:61]                 // 000000007E38: D1000024 00F2497F
	v_cndmask_b32_e64 v37, v127, v37, s[60:61]                 // 000000007E40: D1000025 00F24B7F
	v_cndmask_b32_e64 v38, v127, v38, s[60:61]                 // 000000007E48: D1000026 00F24D7F
	v_cndmask_b32_e64 v39, v127, v39, s[60:61]                 // 000000007E50: D1000027 00F24F7F
	s_branch label_0FBE                                        // 000000007E58: BF820013

0000000000007e5c <label_0FAB>:
	s_mov_b32 s60, 64                                          // 000000007E5C: BEBC00C0
	v_and_b32_e32 v32, 15, v0                                  // 000000007E60: 2640008F
	v_add_u32_e64 v32, v32, s60                                // 000000007E64: D1340020 00007920
	v_mul_i32_i24_e64 v33, s46, 16                             // 000000007E6C: D1060021 0001202E
	v_add_u32_e32 v32, v32, v33                                // 000000007E74: 68404320
	v_cmp_lt_u32_e64 s[60:61], v32, s64                        // 000000007E78: D0C9003C 00008120
	s_nop 1                                                    // 000000007E80: BF800001
	v_cndmask_b32_e64 v40, v127, v40, s[60:61]                 // 000000007E84: D1000028 00F2517F
	v_cndmask_b32_e64 v41, v127, v41, s[60:61]                 // 000000007E8C: D1000029 00F2537F
	v_cndmask_b32_e64 v42, v127, v42, s[60:61]                 // 000000007E94: D100002A 00F2557F
	v_cndmask_b32_e64 v43, v127, v43, s[60:61]                 // 000000007E9C: D100002B 00F2577F
	s_branch label_0FD7                                        // 000000007EA4: BF820019

0000000000007ea8 <label_0FBE>:
	v_mov_b32_e32 v40, v127                                    // 000000007EA8: 7E50037F
	v_mov_b32_e32 v41, v127                                    // 000000007EAC: 7E52037F
	v_mov_b32_e32 v42, v127                                    // 000000007EB0: 7E54037F
	v_mov_b32_e32 v43, v127                                    // 000000007EB4: 7E56037F
	s_branch label_0FD7                                        // 000000007EB8: BF820014

0000000000007ebc <label_0FC3>:
	s_mov_b32 s60, 0x80                                        // 000000007EBC: BEBC00FF 00000080
	v_and_b32_e32 v32, 15, v0                                  // 000000007EC4: 2640008F
	v_add_u32_e64 v32, v32, s60                                // 000000007EC8: D1340020 00007920
	v_mul_i32_i24_e64 v33, s46, 16                             // 000000007ED0: D1060021 0001202E
	v_add_u32_e32 v32, v32, v33                                // 000000007ED8: 68404320
	v_cmp_lt_u32_e64 s[60:61], v32, s64                        // 000000007EDC: D0C9003C 00008120
	s_nop 1                                                    // 000000007EE4: BF800001
	v_cndmask_b32_e64 v44, v127, v44, s[60:61]                 // 000000007EE8: D100002C 00F2597F
	v_cndmask_b32_e64 v45, v127, v45, s[60:61]                 // 000000007EF0: D100002D 00F25B7F
	v_cndmask_b32_e64 v46, v127, v46, s[60:61]                 // 000000007EF8: D100002E 00F25D7F
	v_cndmask_b32_e64 v47, v127, v47, s[60:61]                 // 000000007F00: D100002F 00F25F7F
	s_branch label_0FDC                                        // 000000007F08: BF820005

0000000000007f0c <label_0FD7>:
	v_mov_b32_e32 v44, v127                                    // 000000007F0C: 7E58037F
	v_mov_b32_e32 v45, v127                                    // 000000007F10: 7E5A037F
	v_mov_b32_e32 v46, v127                                    // 000000007F14: 7E5C037F
	v_mov_b32_e32 v47, v127                                    // 000000007F18: 7E5E037F
	s_branch label_0FDC                                        // 000000007F1C: BF820000

0000000000007f20 <label_0FDC>:
	s_addk_i32 s74, 0x1                                        // 000000007F20: B74A0001
	s_waitcnt lgkmcnt(8)                                       // 000000007F24: BF8CC87F
	v_mfma_f32_16x16x32_bf16 v[60:63], v[72:75], a[64:67], 0   // 000000007F28: D3B5003C 12028148
	v_exp_f32_e32 v36, v36                                     // 000000007F30: 7E484124
	v_exp_f32_e32 v37, v37                                     // 000000007F34: 7E4A4125
	v_mfma_f32_16x16x32_bf16 v[60:63], v[76:79], a[68:71], v[60:63]// 000000007F38: D3B5003C 14F2894C
	v_exp_f32_e32 v38, v38                                     // 000000007F40: 7E4C4126
	v_exp_f32_e32 v39, v39                                     // 000000007F44: 7E4E4127
	v_mfma_f32_16x16x32_bf16 v[60:63], v[80:83], a[72:75], v[60:63]// 000000007F48: D3B5003C 14F29150
	v_fma_f32 v44, v44, s57, -v104                             // 000000007F50: D1CB002C 85A0732C
	v_fma_f32 v45, v45, s57, -v105                             // 000000007F58: D1CB002D 85A4732D
	v_exp_f32_e32 v40, v40                                     // 000000007F60: 7E504128
	v_exp_f32_e32 v41, v41                                     // 000000007F64: 7E524129
	buffer_atomic_pk_add_bf16 v108, v7, s[32:35], 0 offen      // 000000007F68: E1481000 80086C07
	v_mfma_f32_16x16x32_bf16 v[60:63], v[84:87], a[76:79], v[60:63]// 000000007F70: D3B5003C 14F29954
	ds_read_b64_tr_b16 v[224:225], v13                         // 000000007F78: D9C60000 E000000D
	ds_read_b64_tr_b16 v[226:227], v13 offset:256              // 000000007F80: D9C60100 E200000D
	ds_read_b64_tr_b16 v[228:229], v13 offset:1024             // 000000007F88: D9C60400 E400000D
	ds_read_b64_tr_b16 v[230:231], v13 offset:1280             // 000000007F90: D9C60500 E600000D
	v_mfma_f32_16x16x32_bf16 v[64:67], v[72:75], a[80:83], 0   // 000000007F98: D3B50040 1202A148
	v_fma_f32 v46, v46, s57, -v106                             // 000000007FA0: D1CB002E 85A8732E
	v_fma_f32 v47, v47, s57, -v107                             // 000000007FA8: D1CB002F 85AC732F
	v_exp_f32_e32 v42, v42                                     // 000000007FB0: 7E54412A
	v_exp_f32_e32 v43, v43                                     // 000000007FB4: 7E56412B
	v_mfma_f32_16x16x32_bf16 v[64:67], v[76:79], a[84:87], v[64:67]// 000000007FB8: D3B50040 1502A94C
	ds_read_b64_tr_b16 v[232:233], v13 offset:2048             // 000000007FC0: D9C60800 E800000D
	ds_read_b64_tr_b16 v[234:235], v13 offset:2304             // 000000007FC8: D9C60900 EA00000D
	ds_read_b64_tr_b16 v[236:237], v13 offset:3072             // 000000007FD0: D9C60C00 EC00000D
	ds_read_b64_tr_b16 v[238:239], v13 offset:3328             // 000000007FD8: D9C60D00 EE00000D
	v_mfma_f32_16x16x32_bf16 v[64:67], v[80:83], a[88:91], v[64:67]// 000000007FE0: D3B50040 1502B150
	v_exp_f32_e32 v44, v44                                     // 000000007FE8: 7E58412C
	v_exp_f32_e32 v45, v45                                     // 000000007FEC: 7E5A412D
	v_mfma_f32_16x16x32_bf16 v[64:67], v[84:87], a[92:95], v[64:67]// 000000007FF0: D3B50040 1502B954
	v_cvt_pk_bf16_f32 v120, v36, v37                           // 000000007FF8: D2680078 00024B24
	v_cvt_pk_bf16_f32 v121, v38, v39                           // 000000008000: D2680079 00024F26
	v_cvt_pk_bf16_f32 v122, v40, v41                           // 000000008008: D268007A 00025328
	v_cvt_pk_bf16_f32 v123, v42, v43                           // 000000008010: D268007B 0002572A
	v_mfma_f32_16x16x32_bf16 v[68:71], v[72:75], a[96:99], 0   // 000000008018: D3B50044 1202C148
	v_exp_f32_e32 v46, v46                                     // 000000008020: 7E5C412E
	v_exp_f32_e32 v47, v47                                     // 000000008024: 7E5E412F
	v_mfma_f32_16x16x32_bf16 v[68:71], v[76:79], a[100:103], v[68:71]// 000000008028: D3B50044 1512C94C
	v_permlane16_swap_b32_e32 v120, v122                       // 000000008030: 7EF0B37A
	v_permlane16_swap_b32_e32 v121, v123                       // 000000008034: 7EF2B37B
	v_mfma_f32_16x16x32_bf16 v[68:71], v[80:83], a[104:107], v[68:71]// 000000008038: D3B50044 1512D150
	v_cvt_pk_bf16_f32 v124, v44, v45                           // 000000008040: D268007C 00025B2C
	v_cvt_pk_bf16_f32 v125, v46, v47                           // 000000008048: D268007D 00025F2E
	buffer_atomic_pk_add_bf16 v109, v7, s[32:35], 0 offen offset:768// 000000008050: E1481300 80086D07
	v_mfma_f32_16x16x32_bf16 v[68:71], v[84:87], a[108:111], v[68:71]// 000000008058: D3B50044 1512D954
	ds_read_b64_tr_b16 v[240:241], v13 offset:4096             // 000000008060: D9C61000 F000000D
	ds_read_b64_tr_b16 v[242:243], v13 offset:4352             // 000000008068: D9C61100 F200000D
	ds_read_b64_tr_b16 v[244:245], v13 offset:5120             // 000000008070: D9C61400 F400000D
	ds_read_b64_tr_b16 v[246:247], v13 offset:5376             // 000000008078: D9C61500 F600000D
	s_waitcnt lgkmcnt(12)                                      // 000000008080: BF8CCC7F
	v_mfma_f32_32x32x16_bf16 v[128:143], v[88:91], v[120:123], v[128:143]// 000000008084: D3B70080 0602F158
	v_subrev_f32_dpp v60, v126, v60 quad_perm:[0,0,0,0] row_mask:0xf bank_mask:0xf// 00000000808C: 067878FA FF00007E
	v_subrev_f32_dpp v61, v126, v61 quad_perm:[1,1,1,1] row_mask:0xf bank_mask:0xf// 000000008094: 067A7AFA FF00557E
	v_subrev_f32_dpp v62, v126, v62 quad_perm:[2,2,2,2] row_mask:0xf bank_mask:0xf// 00000000809C: 067C7CFA FF00AA7E
	v_subrev_f32_dpp v63, v126, v63 quad_perm:[3,3,3,3] row_mask:0xf bank_mask:0xf// 0000000080A4: 067E7EFA FF00FF7E
	v_subrev_f32_dpp v64, v126, v64 quad_perm:[0,0,0,0] row_mask:0xf bank_mask:0xf// 0000000080AC: 068080FA FF00007E
	v_subrev_f32_dpp v65, v126, v65 quad_perm:[1,1,1,1] row_mask:0xf bank_mask:0xf// 0000000080B4: 068282FA FF00557E
	v_subrev_f32_dpp v66, v126, v66 quad_perm:[2,2,2,2] row_mask:0xf bank_mask:0xf// 0000000080BC: 068484FA FF00AA7E
	v_subrev_f32_dpp v67, v126, v67 quad_perm:[3,3,3,3] row_mask:0xf bank_mask:0xf// 0000000080C4: 068686FA FF00FF7E
	v_mul_f32_e32 v60, v36, v60                                // 0000000080CC: 0A787924
	v_mul_f32_e32 v61, v37, v61                                // 0000000080D0: 0A7A7B25
	v_mul_f32_e32 v62, v38, v62                                // 0000000080D4: 0A7C7D26
	v_mul_f32_e32 v63, v39, v63                                // 0000000080D8: 0A7E7F27
	v_mfma_f32_32x32x16_bf16 v[144:159], v[92:95], v[120:123], v[144:159]// 0000000080DC: D3B70090 0642F15C
	ds_read_b64_tr_b16 a[0:1], v19                             // 0000000080E4: DBC60000 00000013
	ds_read_b64_tr_b16 a[2:3], v19 offset:256                  // 0000000080EC: DBC60100 02000013
	ds_read_b64_tr_b16 a[4:5], v19 offset:12288                // 0000000080F4: DBC63000 04000013
	ds_read_b64_tr_b16 a[6:7], v19 offset:12544                // 0000000080FC: DBC63100 06000013
	ds_read_b64_tr_b16 a[8:9], v19 offset:24576                // 000000008104: DBC66000 08000013
	buffer_atomic_pk_add_bf16 v110, v8, s[32:35], 0 offen      // 00000000810C: E1481000 80086E08
	v_mfma_f32_32x32x16_bf16 v[160:175], v[96:99], v[120:123], v[160:175]// 000000008114: D3B700A0 0682F160
	v_mul_f32_e32 v64, v40, v64                                // 00000000811C: 0A808128
	v_mul_f32_e32 v65, v41, v65                                // 000000008120: 0A828329
	v_mul_f32_e32 v66, v42, v66                                // 000000008124: 0A84852A
	v_mul_f32_e32 v67, v43, v67                                // 000000008128: 0A86872B
	v_permlane16_swap_b32_e32 v88, v90                         // 00000000812C: 7EB0B35A
	v_permlane16_swap_b32_e32 v89, v91                         // 000000008130: 7EB2B35B
	v_cvt_pk_bf16_f32 v60, v60, v61                            // 000000008134: D268003C 00027B3C
	v_cvt_pk_bf16_f32 v61, v62, v63                            // 00000000813C: D268003D 00027F3E
	v_cvt_pk_bf16_f32 v62, v64, v65                            // 000000008144: D268003E 00028340
	v_cvt_pk_bf16_f32 v63, v66, v67                            // 00000000814C: D268003F 00028742
	v_permlane16_swap_b32_e32 v92, v94                         // 000000008154: 7EB8B35E
	v_permlane16_swap_b32_e32 v93, v95                         // 000000008158: 7EBAB35F
	v_mfma_f32_32x32x16_bf16 v[176:191], v[100:103], v[120:123], v[176:191]// 00000000815C: D3B700B0 06C2F164
	ds_read_b64_tr_b16 a[10:11], v19 offset:24832              // 000000008164: DBC66100 0A000013
	ds_read_b64_tr_b16 a[12:13], v19 offset:36864              // 00000000816C: DBC69000 0C000013
	ds_read_b64_tr_b16 a[14:15], v19 offset:37120              // 000000008174: DBC69100 0E000013
	ds_read_b64_tr_b16 a[16:17], v19 offset:49152              // 00000000817C: DBC6C000 10000013
	ds_read_b64_tr_b16 a[18:19], v19 offset:49408              // 000000008184: DBC6C100 12000013
	ds_read_b32 v104, v16 offset:38144                         // 00000000818C: D86C9500 68000010
	v_mfma_f32_16x16x16_bf16 v[192:195], v[88:89], v[124:125], v[192:195]// 000000008194: D3E100C0 0702F958
	v_permlane16_swap_b32_e32 v96, v98                         // 00000000819C: 7EC0B362
	v_permlane16_swap_b32_e32 v97, v99                         // 0000000081A0: 7EC2B363
	v_subrev_f32_dpp v68, v126, v68 quad_perm:[0,0,0,0] row_mask:0xf bank_mask:0xf// 0000000081A4: 068888FA FF00007E
	v_subrev_f32_dpp v69, v126, v69 quad_perm:[1,1,1,1] row_mask:0xf bank_mask:0xf// 0000000081AC: 068A8AFA FF00557E
	v_mfma_f32_16x16x16_bf16 v[196:199], v[90:91], v[124:125], v[196:199]// 0000000081B4: D3E100C4 0712F95A
	buffer_atomic_pk_add_bf16 v111, v8, s[32:35], 0 offen offset:768// 0000000081BC: E1481300 80086F08
	ds_write_b64 v15, v[60:61] offset:30720                    // 0000000081C4: D89A7800 00003C0F
	ds_write_b64 v15, v[62:63] offset:33024                    // 0000000081CC: D89A8100 00003E0F
	v_mfma_f32_16x16x16_bf16 v[200:203], v[92:93], v[124:125], v[200:203]// 0000000081D4: D3E100C8 0722F95C
	v_permlane16_swap_b32_e32 v100, v102                       // 0000000081DC: 7EC8B366
	v_permlane16_swap_b32_e32 v101, v103                       // 0000000081E0: 7ECAB367
	v_subrev_f32_dpp v70, v126, v70 quad_perm:[2,2,2,2] row_mask:0xf bank_mask:0xf// 0000000081E4: 068C8CFA FF00AA7E
	v_subrev_f32_dpp v71, v126, v71 quad_perm:[3,3,3,3] row_mask:0xf bank_mask:0xf// 0000000081EC: 068E8EFA FF00FF7E
	v_mfma_f32_16x16x16_bf16 v[204:207], v[94:95], v[124:125], v[204:207]// 0000000081F4: D3E100CC 0732F95E
	v_permlane16_swap_b32_e32 v60, v62                         // 0000000081FC: 7E78B33E
	v_permlane16_swap_b32_e32 v61, v63                         // 000000008200: 7E7AB33F
	v_mfma_f32_16x16x16_bf16 v[208:211], v[96:97], v[124:125], v[208:211]// 000000008204: D3E100D0 0742F960
	v_mul_f32_e32 v68, v44, v68                                // 00000000820C: 0A88892C
	v_mul_f32_e32 v69, v45, v69                                // 000000008210: 0A8A8B2D
	v_mul_f32_e32 v70, v46, v70                                // 000000008214: 0A8C8D2E
	v_mfma_f32_16x16x16_bf16 v[212:215], v[98:99], v[124:125], v[212:215]// 000000008218: D3E100D4 0752F962
	ds_read_b64_tr_b16 a[20:21], v19 offset:61440              // 000000008220: DBC6F000 14000013
	ds_read_b64_tr_b16 a[22:23], v19 offset:61696              // 000000008228: DBC6F100 16000013
	ds_read_b64_tr_b16 a[24:25], v20                           // 000000008230: DBC60000 18000014
	v_mfma_f32_16x16x16_bf16 v[216:219], v[100:101], v[124:125], v[216:219]// 000000008238: D3E100D8 0762F964
	v_mul_f32_e32 v71, v47, v71                                // 000000008240: 0A8E8F2F
	v_cvt_pk_bf16_f32 v64, v68, v69                            // 000000008244: D2680040 00028B44
	v_cvt_pk_bf16_f32 v65, v70, v71                            // 00000000824C: D2680041 00028F46
	v_mfma_f32_16x16x16_bf16 v[220:223], v[102:103], v[124:125], v[220:223]// 000000008254: D3E100DC 0772F966
	ds_read_b32 v126, v16 offset:38400                         // 00000000825C: D86C9600 7E000010
	ds_read_b64_tr_b16 a[26:27], v20 offset:256                // 000000008264: DBC60100 1A000014
	ds_read_b64_tr_b16 a[28:29], v20 offset:12288              // 00000000826C: DBC63000 1C000014
	s_waitcnt lgkmcnt(8)                                       // 000000008274: BF8CC87F
	v_mfma_f32_32x32x16_bf16 a[112:127], v[224:227], v[60:63], a[112:127]// 000000008278: D3B78070 05C279E0
	v_cmp_eq_f32_e32 vcc, v127, v104                           // 000000008280: 7C84D17F
	v_cndmask_b32_e64 v104, v104, 0, vcc                       // 000000008284: D1000068 01A90168
	v_mul_f32_e32 v104, s48, v104                              // 00000000828C: 0AD0D030
	buffer_atomic_pk_add_bf16 v112, v9, s[32:35], 0 offen      // 000000008290: E1481000 80087009
	v_mfma_f32_32x32x16_bf16 a[128:143], v[228:231], v[60:63], a[128:143]// 000000008298: D3B78080 060279E4
	ds_read_b64_tr_b16 a[30:31], v20 offset:12544              // 0000000082A0: DBC63100 1E000014
	ds_write_b64 v15, v[64:65] offset:35328                    // 0000000082A8: D89A8A00 0000400F
	ds_read_b64_tr_b16 a[32:33], v20 offset:24576              // 0000000082B0: DBC66000 20000014
	ds_read_b64_tr_b16 a[34:35], v20 offset:24832              // 0000000082B8: DBC66100 22000014
	v_mfma_f32_32x32x16_bf16 a[144:159], v[232:235], v[60:63], a[144:159]// 0000000082C0: D3B78090 064279E8
	.long 0x7fc0b3e2                                           // 0000000082C8: 7FC0B3E2
	.long 0x7fc2b3e3                                           // 0000000082CC: 7FC2B3E3
	v_mfma_f32_32x32x16_bf16 a[160:175], v[236:239], v[60:63], a[160:175]// 0000000082D0: D3B780A0 068279EC
	ds_read_b64_tr_b16 a[36:37], v20 offset:36864              // 0000000082D8: DBC69000 24000014
	ds_read_b64_tr_b16 a[38:39], v20 offset:37120              // 0000000082E0: DBC69100 26000014
	ds_read_b64_tr_b16 a[40:41], v20 offset:49152              // 0000000082E8: DBC6C000 28000014
	ds_read_b64_tr_b16 a[42:43], v20 offset:49408              // 0000000082F0: DBC6C100 2A000014
	ds_read_b64_tr_b16 a[44:45], v20 offset:61440              // 0000000082F8: DBC6F000 2C000014
	ds_read_b64_tr_b16 a[46:47], v20 offset:61696              // 000000008300: DBC6F100 2E000014
	s_waitcnt lgkmcnt(8)                                       // 000000008308: BF8CC87F
	s_barrier                                                  // 00000000830C: BF8A0000
	v_mfma_f32_32x32x16_bf16 a[176:191], v[240:243], v[60:63], a[176:191]// 000000008310: D3B780B0 06C279F0
	.long 0x7fc8b3e6                                           // 000000008318: 7FC8B3E6
	.long 0x7fcab3e7                                           // 00000000831C: 7FCAB3E7
	v_mov_b32_dpp v107, v104 quad_perm:[3,3,3,3] row_mask:0xf bank_mask:0xf// 000000008320: 7ED602FA FF00FF68
	v_mov_b32_dpp v106, v104 quad_perm:[2,2,2,2] row_mask:0xf bank_mask:0xf// 000000008328: 7ED402FA FF00AA68
	v_mfma_f32_32x32x16_bf16 a[192:207], v[244:247], v[60:63], a[192:207]// 000000008330: D3B780C0 070279F4
	ds_read_b64_tr_b16 v[36:37], v14 offset:30720              // 000000008338: D9C67800 2400000E
	ds_read_b64_tr_b16 v[38:39], v14 offset:30752              // 000000008340: D9C67820 2600000E
	ds_read_b64_tr_b16 v[40:41], v14 offset:31872              // 000000008348: D9C67C80 2800000E
	ds_read_b64_tr_b16 v[42:43], v14 offset:31904              // 000000008350: D9C67CA0 2A00000E
	ds_read_b64_tr_b16 v[44:45], v14 offset:33024              // 000000008358: D9C68100 2C00000E
	ds_read_b64_tr_b16 v[46:47], v14 offset:33056              // 000000008360: D9C68120 2E00000E
	v_mfma_f32_16x16x16_bf16 a[208:211], v[224:225], v[64:65], a[208:211]// 000000008368: D3E180D0 074281E0
	.long 0x7fd0b3ea                                           // 000000008370: 7FD0B3EA
	.long 0x7fd2b3eb                                           // 000000008374: 7FD2B3EB
	v_mfma_f32_16x16x16_bf16 a[212:215], v[226:227], v[64:65], a[212:215]// 000000008378: D3E180D4 075281E2
	ds_read_b64_tr_b16 v[48:49], v14 offset:34176              // 000000008380: D9C68580 3000000E
	ds_read_b64_tr_b16 v[50:51], v14 offset:34208              // 000000008388: D9C685A0 3200000E
	ds_read_b64_tr_b16 v[52:53], v14 offset:35328              // 000000008390: D9C68A00 3400000E
	v_mfma_f32_16x16x16_bf16 a[216:219], v[228:229], v[64:65], a[216:219]// 000000008398: D3E180D8 076281E4
	v_permlane16_swap_b32_e32 v236, v238                       // 0000000083A0: 7FD8B3EE
	v_permlane16_swap_b32_e32 v237, v239                       // 0000000083A4: 7FDAB3EF
	v_mfma_f32_16x16x16_bf16 a[220:223], v[230:231], v[64:65], a[220:223]// 0000000083A8: D3E180DC 077281E6
	ds_read_b64_tr_b16 v[54:55], v14 offset:35360              // 0000000083B0: D9C68A20 3600000E
	ds_read_b64_tr_b16 v[56:57], v14 offset:36480              // 0000000083B8: D9C68E80 3800000E
	ds_read_b64_tr_b16 v[58:59], v14 offset:36512              // 0000000083C0: D9C68EA0 3A00000E
	v_mfma_f32_16x16x16_bf16 a[224:227], v[232:233], v[64:65], a[224:227]// 0000000083C8: D3E180E0 078281E8
	v_permlane16_swap_b32_e32 v240, v242                       // 0000000083D0: 7FE0B3F2
	v_permlane16_swap_b32_e32 v241, v243                       // 0000000083D4: 7FE2B3F3
	v_mfma_f32_16x16x16_bf16 a[228:231], v[234:235], v[64:65], a[228:231]// 0000000083D8: D3E180E4 079281EA
	ds_read_b64_tr_b16 a[48:49], v21                           // 0000000083E0: DBC60000 30000015
	ds_read_b64_tr_b16 a[50:51], v21 offset:256                // 0000000083E8: DBC60100 32000015
	ds_read_b64_tr_b16 a[52:53], v21 offset:12288              // 0000000083F0: DBC63000 34000015
	v_mfma_f32_16x16x16_bf16 a[232:235], v[236:237], v[64:65], a[232:235]// 0000000083F8: D3E180E8 07A281EC
	v_permlane16_swap_b32_e32 v244, v246                       // 000000008400: 7FE8B3F6
	v_permlane16_swap_b32_e32 v245, v247                       // 000000008404: 7FEAB3F7
	v_mfma_f32_16x16x16_bf16 a[236:239], v[238:239], v[64:65], a[236:239]// 000000008408: D3E180EC 07B281EE
	ds_read_b64_tr_b16 a[54:55], v21 offset:12544              // 000000008410: DBC63100 36000015
	ds_read_b64_tr_b16 a[56:57], v21 offset:24576              // 000000008418: DBC66000 38000015
	ds_read_b64_tr_b16 a[58:59], v21 offset:24832              // 000000008420: DBC66100 3A000015
	v_mfma_f32_16x16x16_bf16 a[240:243], v[240:241], v[64:65], a[240:243]// 000000008428: D3E180F0 07C281F0
	v_mov_b32_dpp v105, v104 quad_perm:[1,1,1,1] row_mask:0xf bank_mask:0xf// 000000008430: 7ED202FA FF005568
	buffer_atomic_pk_add_bf16 v113, v9, s[32:35], 0 offen offset:768// 000000008438: E1481300 80087109
	v_mfma_f32_16x16x16_bf16 a[244:247], v[242:243], v[64:65], a[244:247]// 000000008440: D3E180F4 07D281F2
	ds_read_b64_tr_b16 a[60:61], v21 offset:36864              // 000000008448: DBC69000 3C000015
	ds_read_b64_tr_b16 a[62:63], v21 offset:37120              // 000000008450: DBC69100 3E000015
	ds_read_b64_tr_b16 v[248:249], v21 offset:49152            // 000000008458: D9C6C000 F8000015
	v_mfma_f32_16x16x16_bf16 a[248:251], v[244:245], v[64:65], a[248:251]// 000000008460: D3E180F8 07E281F4
	v_mov_b32_dpp v104, v104 quad_perm:[0,0,0,0] row_mask:0xf bank_mask:0xf// 000000008468: 7ED002FA FF000068
	v_mfma_f32_16x16x16_bf16 a[252:255], v[246:247], v[64:65], a[252:255]// 000000008470: D3E180FC 07F281F6
	ds_read_b64_tr_b16 v[250:251], v21 offset:49408            // 000000008478: D9C6C100 FA000015
	ds_read_b64_tr_b16 v[252:253], v21 offset:61440            // 000000008480: D9C6F000 FC000015
	ds_read_b64_tr_b16 v[254:255], v21 offset:61696            // 000000008488: D9C6F100 FE000015
	s_waitcnt vmcnt(6) lgkmcnt(6)                              // 000000008490: BF8C0676
	s_barrier                                                  // 000000008494: BF8A0000
	v_mfma_f32_16x16x32_bf16 v[108:111], a[0:3], v[36:39], 0   // 000000008498: D3B5006C 0A024900
	s_mov_b32 m0, s81                                          // 0000000084A0: BEFC0051
	buffer_load_dwordx4 v1, s[8:11], 0 idxen lds               // 0000000084A4: E05D2000 80020001
	v_mfma_f32_16x16x32_bf16 v[108:111], a[4:7], v[40:43], v[108:111]// 0000000084AC: D3B5006C 0DB25104
	ds_read_b128 v[224:227], v12 offset:6144                   // 0000000084B4: D9FE1800 E000000C
	ds_read_b128 v[228:231], v12 offset:7168                   // 0000000084BC: D9FE1C00 E400000C
	v_mfma_f32_16x16x32_bf16 v[108:111], a[8:11], v[44:47], v[108:111]// 0000000084C4: D3B5006C 0DB25908
	s_mov_b32 m0, s82                                          // 0000000084CC: BEFC0052
	buffer_load_dword v2, s[8:11], 0 idxen lds                 // 0000000084D0: E0512000 80020002
	v_mfma_f32_16x16x32_bf16 v[108:111], a[12:15], v[48:51], v[108:111]// 0000000084D8: D3B5006C 0DB2610C
	ds_read_b128 v[232:235], v12 offset:8192                   // 0000000084E0: D9FE2000 E800000C
	ds_read_b128 v[236:239], v12 offset:9216                   // 0000000084E8: D9FE2400 EC00000C
	v_mfma_f32_16x16x32_bf16 v[108:111], a[16:19], v[52:55], v[108:111]// 0000000084F0: D3B5006C 0DB26910
	s_mov_b32 m0, s83                                          // 0000000084F8: BEFC0053
	buffer_load_dword v3, s[8:11], 0 idxen lds                 // 0000000084FC: E0512000 80020003
	v_mfma_f32_16x16x32_bf16 v[108:111], a[20:23], v[56:59], v[108:111]// 000000008504: D3B5006C 0DB27114
	ds_read_b128 v[240:243], v12 offset:10240                  // 00000000850C: D9FE2800 F000000C
	ds_read_b128 v[244:247], v12 offset:11264                  // 000000008514: D9FE2C00 F400000C
	v_mfma_f32_16x16x32_bf16 v[112:115], a[24:27], v[36:39], 0 // 00000000851C: D3B50070 0A024918
	s_mov_b32 m0, s99                                          // 000000008524: BEFC0063
	buffer_load_dwordx4 v4, s[20:23], 0 idxen lds              // 000000008528: E05D2000 80050004
	v_mfma_f32_16x16x32_bf16 v[112:115], a[28:31], v[40:43], v[112:115]// 000000008530: D3B50070 0DC2511C
	ds_read_b128 a[0:3], v17                                   // 000000008538: DBFE0000 00000011
	ds_read_b128 a[4:7], v17 offset:1024                       // 000000008540: DBFE0400 04000011
	v_mfma_f32_16x16x32_bf16 v[112:115], a[32:35], v[44:47], v[112:115]// 000000008548: D3B50070 0DC25920
	v_mul_f32_e32 v108, s47, v108                              // 000000008550: 0AD8D82F
	v_mul_f32_e32 v109, s47, v109                              // 000000008554: 0ADADA2F
	s_mov_b32 m0, s78                                          // 000000008558: BEFC004E
	buffer_load_dword v11, s[24:27], 0 idxen lds               // 00000000855C: E0512000 8006000B
	v_mfma_f32_16x16x32_bf16 v[112:115], a[36:39], v[48:51], v[112:115]// 000000008564: D3B50070 0DC26124
	ds_read_b128 a[8:11], v17 offset:2048                      // 00000000856C: DBFE0800 08000011
	ds_read_b128 a[12:15], v17 offset:3072                     // 000000008574: DBFE0C00 0C000011
	v_mfma_f32_16x16x32_bf16 v[112:115], a[40:43], v[52:55], v[112:115]// 00000000857C: D3B50070 0DC26928
	s_add_u32 s60, 64, s59                                     // 000000008584: 803C3BC0
	s_cmp_lt_u32 s60, s58                                      // 000000008588: BF0A3A3C
	s_cselect_b32 s68, s68, 0                                  // 00000000858C: 85448044
	s_cselect_b32 s98, s98, 0                                  // 000000008590: 85628062
	s_cselect_b32 s69, s69, 0                                  // 000000008594: 85458045
	v_mfma_f32_16x16x32_bf16 v[112:115], a[44:47], v[56:59], v[112:115]// 000000008598: D3B50070 0DC2712C
	ds_read_b128 a[16:19], v17 offset:4096                     // 0000000085A0: DBFE1000 10000011
	ds_read_b128 a[20:23], v17 offset:5120                     // 0000000085A8: DBFE1400 14000011
	v_mfma_f32_16x16x32_bf16 v[116:119], a[48:51], v[36:39], 0 // 0000000085B0: D3B50074 0A024930
	v_add_u32_e32 v1, s68, v1                                  // 0000000085B8: 68020244
	v_add_u32_e32 v2, s68, v2                                  // 0000000085BC: 68040444
	v_add_u32_e32 v3, s68, v3                                  // 0000000085C0: 68060644
	v_add_u32_e32 v4, s98, v4                                  // 0000000085C4: 68080862
	v_add_u32_e32 v11, s69, v11                                // 0000000085C8: 68161645
	v_mfma_f32_16x16x32_bf16 v[116:119], a[52:55], v[40:43], v[116:119]// 0000000085CC: D3B50074 0DD25134
	ds_read_b128 a[24:27], v17 offset:24576                    // 0000000085D4: DBFE6000 18000011
	ds_read_b128 a[28:31], v17 offset:25600                    // 0000000085DC: DBFE6400 1C000011
	s_waitcnt lgkmcnt(14)                                      // 0000000085E4: BF8CCE7F
	v_mfma_f32_16x16x32_bf16 v[116:119], a[56:59], v[44:47], v[116:119]// 0000000085E8: D3B50074 0DD25938
	v_mul_f32_e32 v110, s47, v110                              // 0000000085F0: 0ADCDC2F
	v_mul_f32_e32 v111, s47, v111                              // 0000000085F4: 0ADEDE2F
	s_cmp_ge_u32 s59, s73                                      // 0000000085F8: BF09493B
	s_cselect_b32 s66, s67, s66                                // 0000000085FC: 85424243
	v_mfma_f32_16x16x32_bf16 v[116:119], a[60:63], v[48:51], v[116:119]// 000000008600: D3B50074 0DD2613C
	ds_read_b128 a[32:35], v17 offset:26624                    // 000000008608: DBFE6800 20000011
	ds_read_b128 a[36:39], v17 offset:27648                    // 000000008610: DBFE6C00 24000011
	v_mfma_f32_16x16x32_bf16 v[116:119], v[248:251], v[52:55], v[116:119]// 000000008618: D3B50074 05D269F8
	s_addk_i32 s59, 0x10                                       // 000000008620: B73B0010
	v_mul_f32_e32 v112, s47, v112                              // 000000008624: 0AE0E02F
	v_mul_f32_e32 v113, s47, v113                              // 000000008628: 0AE2E22F
	s_cmp_lt_i32 s59, s58                                      // 00000000862C: BF043A3B
	v_mfma_f32_16x16x32_bf16 v[116:119], v[252:255], v[56:59], v[116:119]// 000000008630: D3B50074 05D271FC
	ds_read_b128 a[40:43], v17 offset:28672                    // 000000008638: DBFE7000 28000011
	ds_read_b128 a[44:47], v17 offset:29696                    // 000000008640: DBFE7400 2C000011
	s_cbranch_scc0 label_0ED1                                  // 000000008648: BF84FD2F
	s_waitcnt lgkmcnt(2)                                       // 00000000864C: BF8CC27F
	v_mfma_f32_16x16x32_bf16 v[36:39], v[224:227], a[0:3], 0   // 000000008650: D3B50024 120201E0
	v_add_u32_e32 v7, s66, v7                                  // 000000008658: 680E0E42
	v_add_u32_e32 v8, s66, v8                                  // 00000000865C: 68101042
	v_add_u32_e32 v9, s66, v9                                  // 000000008660: 68121242
	v_mfma_f32_16x16x32_bf16 v[36:39], v[228:231], a[4:7], v[36:39]// 000000008664: D3B50024 149209E4
	ds_read_b128 a[48:51], v17 offset:49152                    // 00000000866C: DBFEC000 30000011
	ds_read_b128 a[52:55], v17 offset:50176                    // 000000008674: DBFEC400 34000011
	v_mfma_f32_16x16x32_bf16 v[36:39], v[232:235], a[8:11], v[36:39]// 00000000867C: D3B50024 149211E8
	v_cvt_pk_bf16_f32 v108, v108, v109                         // 000000008684: D268006C 0002DB6C
	v_cvt_pk_bf16_f32 v109, v110, v111                         // 00000000868C: D268006D 0002DF6E
	v_mfma_f32_16x16x32_bf16 v[36:39], v[236:239], a[12:15], v[36:39]// 000000008694: D3B50024 149219EC
	ds_read_b128 a[56:59], v17 offset:51200                    // 00000000869C: DBFEC800 38000011
	ds_read_b128 a[60:63], v17 offset:52224                    // 0000000086A4: DBFECC00 3C000011
	v_mfma_f32_16x16x32_bf16 v[36:39], v[240:243], a[16:19], v[36:39]// 0000000086AC: D3B50024 149221F0
	v_mul_f32_e32 v114, s47, v114                              // 0000000086B4: 0AE4E42F
	v_mul_f32_e32 v115, s47, v115                              // 0000000086B8: 0AE6E62F
	v_mfma_f32_16x16x32_bf16 v[36:39], v[244:247], a[20:23], v[36:39]// 0000000086BC: D3B50024 149229F4
	ds_read_b128 v[248:251], v17 offset:53248                  // 0000000086C4: D9FED000 F8000011
	ds_read_b128 v[252:255], v17 offset:54272                  // 0000000086CC: D9FED400 FC000011
	v_mfma_f32_16x16x32_bf16 v[40:43], v[224:227], a[24:27], 0 // 0000000086D4: D3B50028 120231E0
	v_mul_f32_e32 v116, s47, v116                              // 0000000086DC: 0AE8E82F
	v_mul_f32_e32 v117, s47, v117                              // 0000000086E0: 0AEAEA2F
	v_mfma_f32_16x16x32_bf16 v[40:43], v[228:231], a[28:31], v[40:43]// 0000000086E4: D3B50028 14A239E4
	ds_read_b128 v[72:75], v12 offset:22528                    // 0000000086EC: D9FE5800 4800000C
	ds_read_b128 v[76:79], v12 offset:23552                    // 0000000086F4: D9FE5C00 4C00000C
	v_mfma_f32_16x16x32_bf16 v[40:43], v[232:235], a[32:35], v[40:43]// 0000000086FC: D3B50028 14A241E8
	v_mul_f32_e32 v118, s47, v118                              // 000000008704: 0AECEC2F
	v_mul_f32_e32 v119, s47, v119                              // 000000008708: 0AEEEE2F
	v_cvt_pk_bf16_f32 v110, v112, v113                         // 00000000870C: D268006E 0002E370
	v_cvt_pk_bf16_f32 v111, v114, v115                         // 000000008714: D268006F 0002E772
	v_mfma_f32_16x16x32_bf16 v[40:43], v[236:239], a[36:39], v[40:43]// 00000000871C: D3B50028 14A249EC
	ds_read_b128 v[80:83], v12 offset:24576                    // 000000008724: D9FE6000 5000000C
	ds_read_b128 v[84:87], v12 offset:25600                    // 00000000872C: D9FE6400 5400000C
	s_waitcnt lgkmcnt(10)                                      // 000000008734: BF8CCA7F
	v_mfma_f32_16x16x32_bf16 v[40:43], v[240:243], a[40:43], v[40:43]// 000000008738: D3B50028 14A251F0
	v_fma_f32 v36, v36, s57, -v104                             // 000000008740: D1CB0024 85A07324
	v_fma_f32 v37, v37, s57, -v105                             // 000000008748: D1CB0025 85A47325
	v_mfma_f32_16x16x32_bf16 v[40:43], v[244:247], a[44:47], v[40:43]// 000000008750: D3B50028 14A259F4
	ds_read_b64_tr_b16 v[88:89], v13 offset:22528              // 000000008758: D9C65800 5800000D
	ds_read_b64_tr_b16 v[90:91], v13 offset:22784              // 000000008760: D9C65900 5A00000D
	s_waitcnt lgkmcnt(10)                                      // 000000008768: BF8CCA7F
	v_mfma_f32_16x16x32_bf16 v[44:47], v[224:227], a[48:51], 0 // 00000000876C: D3B5002C 120261E0
	v_fma_f32 v38, v38, s57, -v106                             // 000000008774: D1CB0026 85A87326
	v_fma_f32 v39, v39, s57, -v107                             // 00000000877C: D1CB0027 85AC7327
	v_mfma_f32_16x16x32_bf16 v[44:47], v[228:231], a[52:55], v[44:47]// 000000008784: D3B5002C 14B269E4
	ds_read_b64_tr_b16 v[92:93], v13 offset:23552              // 00000000878C: D9C65C00 5C00000D
	ds_read_b64_tr_b16 v[94:95], v13 offset:23808              // 000000008794: D9C65D00 5E00000D
	s_waitcnt lgkmcnt(10)                                      // 00000000879C: BF8CCA7F
	v_mfma_f32_16x16x32_bf16 v[44:47], v[232:235], a[56:59], v[44:47]// 0000000087A0: D3B5002C 14B271E8
	v_fma_f32 v40, v40, s57, -v104                             // 0000000087A8: D1CB0028 85A07328
	v_fma_f32 v41, v41, s57, -v105                             // 0000000087B0: D1CB0029 85A47329
	v_cvt_pk_bf16_f32 v112, v116, v117                         // 0000000087B8: D2680070 0002EB74
	v_cvt_pk_bf16_f32 v113, v118, v119                         // 0000000087C0: D2680071 0002EF76
	v_mfma_f32_16x16x32_bf16 v[44:47], v[236:239], a[60:63], v[44:47]// 0000000087C8: D3B5002C 14B279EC
	ds_read_b64_tr_b16 v[96:97], v13 offset:24576              // 0000000087D0: D9C66000 6000000D
	ds_read_b64_tr_b16 v[98:99], v13 offset:24832              // 0000000087D8: D9C66100 6200000D
	s_waitcnt lgkmcnt(10)                                      // 0000000087E0: BF8CCA7F
	v_mfma_f32_16x16x32_bf16 v[44:47], v[240:243], v[248:251], v[44:47]// 0000000087E4: D3B5002C 04B3F1F0
	v_fma_f32 v42, v42, s57, -v106                             // 0000000087EC: D1CB002A 85A8732A
	v_fma_f32 v43, v43, s57, -v107                             // 0000000087F4: D1CB002B 85AC732B
	v_mfma_f32_16x16x32_bf16 v[44:47], v[244:247], v[252:255], v[44:47]// 0000000087FC: D3B5002C 04B3F9F4
	ds_read_b64_tr_b16 v[100:101], v13 offset:25600            // 000000008804: D9C66400 6400000D
	ds_read_b64_tr_b16 v[102:103], v13 offset:25856            // 00000000880C: D9C66500 6600000D
	s_cmp_eq_i32 s90, 0                                        // 000000008814: BF00805A
	s_cbranch_scc1 label_12AF                                  // 000000008818: BF85008F
	s_cmp_lt_i32 s74, 13                                       // 00000000881C: BF048D4A
	s_cbranch_scc0 label_125A                                  // 000000008820: BF84003D
	s_lshl_b32 s60, s74, 4                                     // 000000008824: 8E3C844A
	v_sub_i32 v32, v24, s60                                    // 000000008828: D29D0020 00007918
	s_mov_b32 s61, 0                                           // 000000008830: BEBD0080
	v_add_i32 v33, v32, s61                                    // 000000008834: D29C0021 00007B20
	v_cmp_gt_i32_e64 s[60:61], v33, 0                          // 00000000883C: D0C4003C 00010121
	v_cmp_gt_i32_e64 s[92:93], v33, 1                          // 000000008844: D0C4005C 00010321
	v_cndmask_b32_e64 v36, v36, v127, s[60:61]                 // 00000000884C: D1000024 00F2FF24
	v_cndmask_b32_e64 v37, v37, v127, s[92:93]                 // 000000008854: D1000025 0172FF25
	v_cmp_gt_i32_e64 s[60:61], v33, 2                          // 00000000885C: D0C4003C 00010521
	v_cmp_gt_i32_e64 s[92:93], v33, 3                          // 000000008864: D0C4005C 00010721
	v_cndmask_b32_e64 v38, v38, v127, s[60:61]                 // 00000000886C: D1000026 00F2FF26
	v_cndmask_b32_e64 v39, v39, v127, s[92:93]                 // 000000008874: D1000027 0172FF27
	s_mov_b32 s61, 64                                          // 00000000887C: BEBD00C0
	v_add_i32 v33, v32, s61                                    // 000000008880: D29C0021 00007B20
	v_cmp_gt_i32_e64 s[60:61], v33, 0                          // 000000008888: D0C4003C 00010121
	v_cmp_gt_i32_e64 s[92:93], v33, 1                          // 000000008890: D0C4005C 00010321
	v_cndmask_b32_e64 v40, v40, v127, s[60:61]                 // 000000008898: D1000028 00F2FF28
	v_cndmask_b32_e64 v41, v41, v127, s[92:93]                 // 0000000088A0: D1000029 0172FF29
	v_cmp_gt_i32_e64 s[60:61], v33, 2                          // 0000000088A8: D0C4003C 00010521
	v_cmp_gt_i32_e64 s[92:93], v33, 3                          // 0000000088B0: D0C4005C 00010721
	v_cndmask_b32_e64 v42, v42, v127, s[60:61]                 // 0000000088B8: D100002A 00F2FF2A
	v_cndmask_b32_e64 v43, v43, v127, s[92:93]                 // 0000000088C0: D100002B 0172FF2B
	s_mov_b32 s61, 0x80                                        // 0000000088C8: BEBD00FF 00000080
	v_add_i32 v33, v32, s61                                    // 0000000088D0: D29C0021 00007B20
	v_cmp_gt_i32_e64 s[60:61], v33, 0                          // 0000000088D8: D0C4003C 00010121
	v_cmp_gt_i32_e64 s[92:93], v33, 1                          // 0000000088E0: D0C4005C 00010321
	v_cndmask_b32_e64 v44, v44, v127, s[60:61]                 // 0000000088E8: D100002C 00F2FF2C
	v_cndmask_b32_e64 v45, v45, v127, s[92:93]                 // 0000000088F0: D100002D 0172FF2D
	v_cmp_gt_i32_e64 s[60:61], v33, 2                          // 0000000088F8: D0C4003C 00010521
	v_cmp_gt_i32_e64 s[92:93], v33, 3                          // 000000008900: D0C4005C 00010721
	v_cndmask_b32_e64 v46, v46, v127, s[60:61]                 // 000000008908: D100002E 00F2FF2E
	v_cndmask_b32_e64 v47, v47, v127, s[92:93]                 // 000000008910: D100002F 0172FF2F

0000000000008918 <label_125A>:
	s_cmp_lt_i32 s64, 0xc0                                     // 000000008918: BF04FF40 000000C0
	s_cbranch_scc0 label_12AF                                  // 000000008920: BF84004D
	s_cmp_le_i32 s64, 64                                       // 000000008924: BF05C040
	s_cbranch_scc1 label_1266                                  // 000000008928: BF850007
	s_cmp_le_i32 s64, 0x80                                     // 00000000892C: BF05FF40 00000080
	s_cbranch_scc1 label_127E                                  // 000000008934: BF850017
	s_cmp_lt_i32 s64, 0xc0                                     // 000000008938: BF04FF40 000000C0
	s_cbranch_scc1 label_1296                                  // 000000008940: BF85002C
	s_branch label_12AF                                        // 000000008944: BF820044

0000000000008948 <label_1266>:
	s_mov_b32 s60, 0                                           // 000000008948: BEBC0080
	v_and_b32_e32 v32, 15, v0                                  // 00000000894C: 2640008F
	v_add_u32_e64 v32, v32, s60                                // 000000008950: D1340020 00007920
	v_mul_i32_i24_e64 v33, s46, 16                             // 000000008958: D1060021 0001202E
	v_add_u32_e32 v32, v32, v33                                // 000000008960: 68404320
	v_cmp_lt_u32_e64 s[60:61], v32, s64                        // 000000008964: D0C9003C 00008120
	s_nop 1                                                    // 00000000896C: BF800001
	v_cndmask_b32_e64 v36, v127, v36, s[60:61]                 // 000000008970: D1000024 00F2497F
	v_cndmask_b32_e64 v37, v127, v37, s[60:61]                 // 000000008978: D1000025 00F24B7F
	v_cndmask_b32_e64 v38, v127, v38, s[60:61]                 // 000000008980: D1000026 00F24D7F
	v_cndmask_b32_e64 v39, v127, v39, s[60:61]                 // 000000008988: D1000027 00F24F7F
	s_branch label_1291                                        // 000000008990: BF820013

0000000000008994 <label_127E>:
	s_mov_b32 s60, 64                                          // 000000008994: BEBC00C0
	v_and_b32_e32 v32, 15, v0                                  // 000000008998: 2640008F
	v_add_u32_e64 v32, v32, s60                                // 00000000899C: D1340020 00007920
	v_mul_i32_i24_e64 v33, s46, 16                             // 0000000089A4: D1060021 0001202E
	v_add_u32_e32 v32, v32, v33                                // 0000000089AC: 68404320
	v_cmp_lt_u32_e64 s[60:61], v32, s64                        // 0000000089B0: D0C9003C 00008120
	s_nop 1                                                    // 0000000089B8: BF800001
	v_cndmask_b32_e64 v40, v127, v40, s[60:61]                 // 0000000089BC: D1000028 00F2517F
	v_cndmask_b32_e64 v41, v127, v41, s[60:61]                 // 0000000089C4: D1000029 00F2537F
	v_cndmask_b32_e64 v42, v127, v42, s[60:61]                 // 0000000089CC: D100002A 00F2557F
	v_cndmask_b32_e64 v43, v127, v43, s[60:61]                 // 0000000089D4: D100002B 00F2577F
	s_branch label_12AA                                        // 0000000089DC: BF820019

00000000000089e0 <label_1291>:
	v_mov_b32_e32 v40, v127                                    // 0000000089E0: 7E50037F
	v_mov_b32_e32 v41, v127                                    // 0000000089E4: 7E52037F
	v_mov_b32_e32 v42, v127                                    // 0000000089E8: 7E54037F
	v_mov_b32_e32 v43, v127                                    // 0000000089EC: 7E56037F
	s_branch label_12AA                                        // 0000000089F0: BF820014

00000000000089f4 <label_1296>:
	s_mov_b32 s60, 0x80                                        // 0000000089F4: BEBC00FF 00000080
	v_and_b32_e32 v32, 15, v0                                  // 0000000089FC: 2640008F
	v_add_u32_e64 v32, v32, s60                                // 000000008A00: D1340020 00007920
	v_mul_i32_i24_e64 v33, s46, 16                             // 000000008A08: D1060021 0001202E
	v_add_u32_e32 v32, v32, v33                                // 000000008A10: 68404320
	v_cmp_lt_u32_e64 s[60:61], v32, s64                        // 000000008A14: D0C9003C 00008120
	s_nop 1                                                    // 000000008A1C: BF800001
	v_cndmask_b32_e64 v44, v127, v44, s[60:61]                 // 000000008A20: D100002C 00F2597F
	v_cndmask_b32_e64 v45, v127, v45, s[60:61]                 // 000000008A28: D100002D 00F25B7F
	v_cndmask_b32_e64 v46, v127, v46, s[60:61]                 // 000000008A30: D100002E 00F25D7F
	v_cndmask_b32_e64 v47, v127, v47, s[60:61]                 // 000000008A38: D100002F 00F25F7F
	s_branch label_12AF                                        // 000000008A40: BF820005

0000000000008a44 <label_12AA>:
	v_mov_b32_e32 v44, v127                                    // 000000008A44: 7E58037F
	v_mov_b32_e32 v45, v127                                    // 000000008A48: 7E5A037F
	v_mov_b32_e32 v46, v127                                    // 000000008A4C: 7E5C037F
	v_mov_b32_e32 v47, v127                                    // 000000008A50: 7E5E037F
	s_branch label_12AF                                        // 000000008A54: BF820000

0000000000008a58 <label_12AF>:
	s_addk_i32 s74, 0x1                                        // 000000008A58: B74A0001
	s_waitcnt lgkmcnt(8)                                       // 000000008A5C: BF8CC87F
	v_mfma_f32_16x16x32_bf16 v[60:63], v[72:75], a[64:67], 0   // 000000008A60: D3B5003C 12028148
	v_exp_f32_e32 v36, v36                                     // 000000008A68: 7E484124
	v_exp_f32_e32 v37, v37                                     // 000000008A6C: 7E4A4125
	v_mfma_f32_16x16x32_bf16 v[60:63], v[76:79], a[68:71], v[60:63]// 000000008A70: D3B5003C 14F2894C
	v_exp_f32_e32 v38, v38                                     // 000000008A78: 7E4C4126
	v_exp_f32_e32 v39, v39                                     // 000000008A7C: 7E4E4127
	v_mfma_f32_16x16x32_bf16 v[60:63], v[80:83], a[72:75], v[60:63]// 000000008A80: D3B5003C 14F29150
	v_fma_f32 v44, v44, s57, -v104                             // 000000008A88: D1CB002C 85A0732C
	v_fma_f32 v45, v45, s57, -v105                             // 000000008A90: D1CB002D 85A4732D
	v_exp_f32_e32 v40, v40                                     // 000000008A98: 7E504128
	v_exp_f32_e32 v41, v41                                     // 000000008A9C: 7E524129
	buffer_atomic_pk_add_bf16 v108, v7, s[32:35], 0 offen      // 000000008AA0: E1481000 80086C07
	v_mfma_f32_16x16x32_bf16 v[60:63], v[84:87], a[76:79], v[60:63]// 000000008AA8: D3B5003C 14F29954
	ds_read_b64_tr_b16 v[224:225], v13 offset:6144             // 000000008AB0: D9C61800 E000000D
	ds_read_b64_tr_b16 v[226:227], v13 offset:6400             // 000000008AB8: D9C61900 E200000D
	ds_read_b64_tr_b16 v[228:229], v13 offset:7168             // 000000008AC0: D9C61C00 E400000D
	ds_read_b64_tr_b16 v[230:231], v13 offset:7424             // 000000008AC8: D9C61D00 E600000D
	v_mfma_f32_16x16x32_bf16 v[64:67], v[72:75], a[80:83], 0   // 000000008AD0: D3B50040 1202A148
	v_fma_f32 v46, v46, s57, -v106                             // 000000008AD8: D1CB002E 85A8732E
	v_fma_f32 v47, v47, s57, -v107                             // 000000008AE0: D1CB002F 85AC732F
	v_exp_f32_e32 v42, v42                                     // 000000008AE8: 7E54412A
	v_exp_f32_e32 v43, v43                                     // 000000008AEC: 7E56412B
	v_mfma_f32_16x16x32_bf16 v[64:67], v[76:79], a[84:87], v[64:67]// 000000008AF0: D3B50040 1502A94C
	ds_read_b64_tr_b16 v[232:233], v13 offset:8192             // 000000008AF8: D9C62000 E800000D
	ds_read_b64_tr_b16 v[234:235], v13 offset:8448             // 000000008B00: D9C62100 EA00000D
	ds_read_b64_tr_b16 v[236:237], v13 offset:9216             // 000000008B08: D9C62400 EC00000D
	ds_read_b64_tr_b16 v[238:239], v13 offset:9472             // 000000008B10: D9C62500 EE00000D
	v_mfma_f32_16x16x32_bf16 v[64:67], v[80:83], a[88:91], v[64:67]// 000000008B18: D3B50040 1502B150
	v_exp_f32_e32 v44, v44                                     // 000000008B20: 7E58412C
	v_exp_f32_e32 v45, v45                                     // 000000008B24: 7E5A412D
	v_mfma_f32_16x16x32_bf16 v[64:67], v[84:87], a[92:95], v[64:67]// 000000008B28: D3B50040 1502B954
	v_cvt_pk_bf16_f32 v120, v36, v37                           // 000000008B30: D2680078 00024B24
	v_cvt_pk_bf16_f32 v121, v38, v39                           // 000000008B38: D2680079 00024F26
	v_cvt_pk_bf16_f32 v122, v40, v41                           // 000000008B40: D268007A 00025328
	v_cvt_pk_bf16_f32 v123, v42, v43                           // 000000008B48: D268007B 0002572A
	v_mfma_f32_16x16x32_bf16 v[68:71], v[72:75], a[96:99], 0   // 000000008B50: D3B50044 1202C148
	v_exp_f32_e32 v46, v46                                     // 000000008B58: 7E5C412E
	v_exp_f32_e32 v47, v47                                     // 000000008B5C: 7E5E412F
	v_mfma_f32_16x16x32_bf16 v[68:71], v[76:79], a[100:103], v[68:71]// 000000008B60: D3B50044 1512C94C
	v_permlane16_swap_b32_e32 v120, v122                       // 000000008B68: 7EF0B37A
	v_permlane16_swap_b32_e32 v121, v123                       // 000000008B6C: 7EF2B37B
	v_mfma_f32_16x16x32_bf16 v[68:71], v[80:83], a[104:107], v[68:71]// 000000008B70: D3B50044 1512D150
	v_cvt_pk_bf16_f32 v124, v44, v45                           // 000000008B78: D268007C 00025B2C
	v_cvt_pk_bf16_f32 v125, v46, v47                           // 000000008B80: D268007D 00025F2E
	buffer_atomic_pk_add_bf16 v109, v7, s[32:35], 0 offen offset:768// 000000008B88: E1481300 80086D07
	v_mfma_f32_16x16x32_bf16 v[68:71], v[84:87], a[108:111], v[68:71]// 000000008B90: D3B50044 1512D954
	ds_read_b64_tr_b16 v[240:241], v13 offset:10240            // 000000008B98: D9C62800 F000000D
	ds_read_b64_tr_b16 v[242:243], v13 offset:10496            // 000000008BA0: D9C62900 F200000D
	ds_read_b64_tr_b16 v[244:245], v13 offset:11264            // 000000008BA8: D9C62C00 F400000D
	ds_read_b64_tr_b16 v[246:247], v13 offset:11520            // 000000008BB0: D9C62D00 F600000D
	s_waitcnt lgkmcnt(12)                                      // 000000008BB8: BF8CCC7F
	v_mfma_f32_32x32x16_bf16 v[128:143], v[88:91], v[120:123], v[128:143]// 000000008BBC: D3B70080 0602F158
	v_subrev_f32_dpp v60, v126, v60 quad_perm:[0,0,0,0] row_mask:0xf bank_mask:0xf// 000000008BC4: 067878FA FF00007E
	v_subrev_f32_dpp v61, v126, v61 quad_perm:[1,1,1,1] row_mask:0xf bank_mask:0xf// 000000008BCC: 067A7AFA FF00557E
	v_subrev_f32_dpp v62, v126, v62 quad_perm:[2,2,2,2] row_mask:0xf bank_mask:0xf// 000000008BD4: 067C7CFA FF00AA7E
	v_subrev_f32_dpp v63, v126, v63 quad_perm:[3,3,3,3] row_mask:0xf bank_mask:0xf// 000000008BDC: 067E7EFA FF00FF7E
	v_subrev_f32_dpp v64, v126, v64 quad_perm:[0,0,0,0] row_mask:0xf bank_mask:0xf// 000000008BE4: 068080FA FF00007E
	v_subrev_f32_dpp v65, v126, v65 quad_perm:[1,1,1,1] row_mask:0xf bank_mask:0xf// 000000008BEC: 068282FA FF00557E
	v_subrev_f32_dpp v66, v126, v66 quad_perm:[2,2,2,2] row_mask:0xf bank_mask:0xf// 000000008BF4: 068484FA FF00AA7E
	v_subrev_f32_dpp v67, v126, v67 quad_perm:[3,3,3,3] row_mask:0xf bank_mask:0xf// 000000008BFC: 068686FA FF00FF7E
	v_mul_f32_e32 v60, v36, v60                                // 000000008C04: 0A787924
	v_mul_f32_e32 v61, v37, v61                                // 000000008C08: 0A7A7B25
	v_mul_f32_e32 v62, v38, v62                                // 000000008C0C: 0A7C7D26
	v_mul_f32_e32 v63, v39, v63                                // 000000008C10: 0A7E7F27
	v_mfma_f32_32x32x16_bf16 v[144:159], v[92:95], v[120:123], v[144:159]// 000000008C14: D3B70090 0642F15C
	ds_read_b64_tr_b16 a[0:1], v19                             // 000000008C1C: DBC60000 00000013
	ds_read_b64_tr_b16 a[2:3], v19 offset:256                  // 000000008C24: DBC60100 02000013
	ds_read_b64_tr_b16 a[4:5], v19 offset:12288                // 000000008C2C: DBC63000 04000013
	ds_read_b64_tr_b16 a[6:7], v19 offset:12544                // 000000008C34: DBC63100 06000013
	ds_read_b64_tr_b16 a[8:9], v19 offset:24576                // 000000008C3C: DBC66000 08000013
	buffer_atomic_pk_add_bf16 v110, v8, s[32:35], 0 offen      // 000000008C44: E1481000 80086E08
	v_mfma_f32_32x32x16_bf16 v[160:175], v[96:99], v[120:123], v[160:175]// 000000008C4C: D3B700A0 0682F160
	v_mul_f32_e32 v64, v40, v64                                // 000000008C54: 0A808128
	v_mul_f32_e32 v65, v41, v65                                // 000000008C58: 0A828329
	v_mul_f32_e32 v66, v42, v66                                // 000000008C5C: 0A84852A
	v_mul_f32_e32 v67, v43, v67                                // 000000008C60: 0A86872B
	v_permlane16_swap_b32_e32 v88, v90                         // 000000008C64: 7EB0B35A
	v_permlane16_swap_b32_e32 v89, v91                         // 000000008C68: 7EB2B35B
	v_cvt_pk_bf16_f32 v60, v60, v61                            // 000000008C6C: D268003C 00027B3C
	v_cvt_pk_bf16_f32 v61, v62, v63                            // 000000008C74: D268003D 00027F3E
	v_cvt_pk_bf16_f32 v62, v64, v65                            // 000000008C7C: D268003E 00028340
	v_cvt_pk_bf16_f32 v63, v66, v67                            // 000000008C84: D268003F 00028742
	v_permlane16_swap_b32_e32 v92, v94                         // 000000008C8C: 7EB8B35E
	v_permlane16_swap_b32_e32 v93, v95                         // 000000008C90: 7EBAB35F
	v_mfma_f32_32x32x16_bf16 v[176:191], v[100:103], v[120:123], v[176:191]// 000000008C94: D3B700B0 06C2F164
	ds_read_b64_tr_b16 a[10:11], v19 offset:24832              // 000000008C9C: DBC66100 0A000013
	ds_read_b64_tr_b16 a[12:13], v19 offset:36864              // 000000008CA4: DBC69000 0C000013
	ds_read_b64_tr_b16 a[14:15], v19 offset:37120              // 000000008CAC: DBC69100 0E000013
	ds_read_b64_tr_b16 a[16:17], v19 offset:49152              // 000000008CB4: DBC6C000 10000013
	ds_read_b64_tr_b16 a[18:19], v19 offset:49408              // 000000008CBC: DBC6C100 12000013
	ds_read_b32 v104, v16 offset:38656                         // 000000008CC4: D86C9700 68000010
	v_mfma_f32_16x16x16_bf16 v[192:195], v[88:89], v[124:125], v[192:195]// 000000008CCC: D3E100C0 0702F958
	v_permlane16_swap_b32_e32 v96, v98                         // 000000008CD4: 7EC0B362
	v_permlane16_swap_b32_e32 v97, v99                         // 000000008CD8: 7EC2B363
	v_subrev_f32_dpp v68, v126, v68 quad_perm:[0,0,0,0] row_mask:0xf bank_mask:0xf// 000000008CDC: 068888FA FF00007E
	v_subrev_f32_dpp v69, v126, v69 quad_perm:[1,1,1,1] row_mask:0xf bank_mask:0xf// 000000008CE4: 068A8AFA FF00557E
	v_mfma_f32_16x16x16_bf16 v[196:199], v[90:91], v[124:125], v[196:199]// 000000008CEC: D3E100C4 0712F95A
	buffer_atomic_pk_add_bf16 v111, v8, s[32:35], 0 offen offset:768// 000000008CF4: E1481300 80086F08
	ds_write_b64 v15, v[60:61] offset:30720                    // 000000008CFC: D89A7800 00003C0F
	ds_write_b64 v15, v[62:63] offset:33024                    // 000000008D04: D89A8100 00003E0F
	v_mfma_f32_16x16x16_bf16 v[200:203], v[92:93], v[124:125], v[200:203]// 000000008D0C: D3E100C8 0722F95C
	v_permlane16_swap_b32_e32 v100, v102                       // 000000008D14: 7EC8B366
	v_permlane16_swap_b32_e32 v101, v103                       // 000000008D18: 7ECAB367
	v_subrev_f32_dpp v70, v126, v70 quad_perm:[2,2,2,2] row_mask:0xf bank_mask:0xf// 000000008D1C: 068C8CFA FF00AA7E
	v_subrev_f32_dpp v71, v126, v71 quad_perm:[3,3,3,3] row_mask:0xf bank_mask:0xf// 000000008D24: 068E8EFA FF00FF7E
	v_mfma_f32_16x16x16_bf16 v[204:207], v[94:95], v[124:125], v[204:207]// 000000008D2C: D3E100CC 0732F95E
	v_permlane16_swap_b32_e32 v60, v62                         // 000000008D34: 7E78B33E
	v_permlane16_swap_b32_e32 v61, v63                         // 000000008D38: 7E7AB33F
	v_mfma_f32_16x16x16_bf16 v[208:211], v[96:97], v[124:125], v[208:211]// 000000008D3C: D3E100D0 0742F960
	v_mul_f32_e32 v68, v44, v68                                // 000000008D44: 0A88892C
	v_mul_f32_e32 v69, v45, v69                                // 000000008D48: 0A8A8B2D
	v_mul_f32_e32 v70, v46, v70                                // 000000008D4C: 0A8C8D2E
	v_mfma_f32_16x16x16_bf16 v[212:215], v[98:99], v[124:125], v[212:215]// 000000008D50: D3E100D4 0752F962
	ds_read_b64_tr_b16 a[20:21], v19 offset:61440              // 000000008D58: DBC6F000 14000013
	ds_read_b64_tr_b16 a[22:23], v19 offset:61696              // 000000008D60: DBC6F100 16000013
	ds_read_b64_tr_b16 a[24:25], v20                           // 000000008D68: DBC60000 18000014
	v_mfma_f32_16x16x16_bf16 v[216:219], v[100:101], v[124:125], v[216:219]// 000000008D70: D3E100D8 0762F964
	v_mul_f32_e32 v71, v47, v71                                // 000000008D78: 0A8E8F2F
	v_cvt_pk_bf16_f32 v64, v68, v69                            // 000000008D7C: D2680040 00028B44
	v_cvt_pk_bf16_f32 v65, v70, v71                            // 000000008D84: D2680041 00028F46
	v_mfma_f32_16x16x16_bf16 v[220:223], v[102:103], v[124:125], v[220:223]// 000000008D8C: D3E100DC 0772F966
	ds_read_b32 v126, v16 offset:38912                         // 000000008D94: D86C9800 7E000010
	ds_read_b64_tr_b16 a[26:27], v20 offset:256                // 000000008D9C: DBC60100 1A000014
	ds_read_b64_tr_b16 a[28:29], v20 offset:12288              // 000000008DA4: DBC63000 1C000014
	s_waitcnt lgkmcnt(8)                                       // 000000008DAC: BF8CC87F
	v_mfma_f32_32x32x16_bf16 a[112:127], v[224:227], v[60:63], a[112:127]// 000000008DB0: D3B78070 05C279E0
	v_cmp_eq_f32_e32 vcc, v127, v104                           // 000000008DB8: 7C84D17F
	v_cndmask_b32_e64 v104, v104, 0, vcc                       // 000000008DBC: D1000068 01A90168
	v_mul_f32_e32 v104, s48, v104                              // 000000008DC4: 0AD0D030
	buffer_atomic_pk_add_bf16 v112, v9, s[32:35], 0 offen      // 000000008DC8: E1481000 80087009
	v_mfma_f32_32x32x16_bf16 a[128:143], v[228:231], v[60:63], a[128:143]// 000000008DD0: D3B78080 060279E4
	ds_read_b64_tr_b16 a[30:31], v20 offset:12544              // 000000008DD8: DBC63100 1E000014
	ds_write_b64 v15, v[64:65] offset:35328                    // 000000008DE0: D89A8A00 0000400F
	ds_read_b64_tr_b16 a[32:33], v20 offset:24576              // 000000008DE8: DBC66000 20000014
	ds_read_b64_tr_b16 a[34:35], v20 offset:24832              // 000000008DF0: DBC66100 22000014
	v_mfma_f32_32x32x16_bf16 a[144:159], v[232:235], v[60:63], a[144:159]// 000000008DF8: D3B78090 064279E8
	.long 0x7fc0b3e2                                           // 000000008E00: 7FC0B3E2
	.long 0x7fc2b3e3                                           // 000000008E04: 7FC2B3E3
	v_mfma_f32_32x32x16_bf16 a[160:175], v[236:239], v[60:63], a[160:175]// 000000008E08: D3B780A0 068279EC
	ds_read_b64_tr_b16 a[36:37], v20 offset:36864              // 000000008E10: DBC69000 24000014
	ds_read_b64_tr_b16 a[38:39], v20 offset:37120              // 000000008E18: DBC69100 26000014
	ds_read_b64_tr_b16 a[40:41], v20 offset:49152              // 000000008E20: DBC6C000 28000014
	ds_read_b64_tr_b16 a[42:43], v20 offset:49408              // 000000008E28: DBC6C100 2A000014
	ds_read_b64_tr_b16 a[44:45], v20 offset:61440              // 000000008E30: DBC6F000 2C000014
	ds_read_b64_tr_b16 a[46:47], v20 offset:61696              // 000000008E38: DBC6F100 2E000014
	s_waitcnt lgkmcnt(8)                                       // 000000008E40: BF8CC87F
	s_barrier                                                  // 000000008E44: BF8A0000
	v_mfma_f32_32x32x16_bf16 a[176:191], v[240:243], v[60:63], a[176:191]// 000000008E48: D3B780B0 06C279F0
	.long 0x7fc8b3e6                                           // 000000008E50: 7FC8B3E6
	.long 0x7fcab3e7                                           // 000000008E54: 7FCAB3E7
	v_mov_b32_dpp v107, v104 quad_perm:[3,3,3,3] row_mask:0xf bank_mask:0xf// 000000008E58: 7ED602FA FF00FF68
	v_mov_b32_dpp v106, v104 quad_perm:[2,2,2,2] row_mask:0xf bank_mask:0xf// 000000008E60: 7ED402FA FF00AA68
	v_mfma_f32_32x32x16_bf16 a[192:207], v[244:247], v[60:63], a[192:207]// 000000008E68: D3B780C0 070279F4
	ds_read_b64_tr_b16 v[36:37], v14 offset:30720              // 000000008E70: D9C67800 2400000E
	ds_read_b64_tr_b16 v[38:39], v14 offset:30752              // 000000008E78: D9C67820 2600000E
	ds_read_b64_tr_b16 v[40:41], v14 offset:31872              // 000000008E80: D9C67C80 2800000E
	ds_read_b64_tr_b16 v[42:43], v14 offset:31904              // 000000008E88: D9C67CA0 2A00000E
	ds_read_b64_tr_b16 v[44:45], v14 offset:33024              // 000000008E90: D9C68100 2C00000E
	ds_read_b64_tr_b16 v[46:47], v14 offset:33056              // 000000008E98: D9C68120 2E00000E
	v_mfma_f32_16x16x16_bf16 a[208:211], v[224:225], v[64:65], a[208:211]// 000000008EA0: D3E180D0 074281E0
	.long 0x7fd0b3ea                                           // 000000008EA8: 7FD0B3EA
	.long 0x7fd2b3eb                                           // 000000008EAC: 7FD2B3EB
	v_mfma_f32_16x16x16_bf16 a[212:215], v[226:227], v[64:65], a[212:215]// 000000008EB0: D3E180D4 075281E2
	ds_read_b64_tr_b16 v[48:49], v14 offset:34176              // 000000008EB8: D9C68580 3000000E
	ds_read_b64_tr_b16 v[50:51], v14 offset:34208              // 000000008EC0: D9C685A0 3200000E
	ds_read_b64_tr_b16 v[52:53], v14 offset:35328              // 000000008EC8: D9C68A00 3400000E
	v_mfma_f32_16x16x16_bf16 a[216:219], v[228:229], v[64:65], a[216:219]// 000000008ED0: D3E180D8 076281E4
	v_permlane16_swap_b32_e32 v236, v238                       // 000000008ED8: 7FD8B3EE
	v_permlane16_swap_b32_e32 v237, v239                       // 000000008EDC: 7FDAB3EF
	v_mfma_f32_16x16x16_bf16 a[220:223], v[230:231], v[64:65], a[220:223]// 000000008EE0: D3E180DC 077281E6
	ds_read_b64_tr_b16 v[54:55], v14 offset:35360              // 000000008EE8: D9C68A20 3600000E
	ds_read_b64_tr_b16 v[56:57], v14 offset:36480              // 000000008EF0: D9C68E80 3800000E
	ds_read_b64_tr_b16 v[58:59], v14 offset:36512              // 000000008EF8: D9C68EA0 3A00000E
	v_mfma_f32_16x16x16_bf16 a[224:227], v[232:233], v[64:65], a[224:227]// 000000008F00: D3E180E0 078281E8
	v_permlane16_swap_b32_e32 v240, v242                       // 000000008F08: 7FE0B3F2
	v_permlane16_swap_b32_e32 v241, v243                       // 000000008F0C: 7FE2B3F3
	v_mfma_f32_16x16x16_bf16 a[228:231], v[234:235], v[64:65], a[228:231]// 000000008F10: D3E180E4 079281EA
	ds_read_b64_tr_b16 a[48:49], v21                           // 000000008F18: DBC60000 30000015
	ds_read_b64_tr_b16 a[50:51], v21 offset:256                // 000000008F20: DBC60100 32000015
	ds_read_b64_tr_b16 a[52:53], v21 offset:12288              // 000000008F28: DBC63000 34000015
	v_mfma_f32_16x16x16_bf16 a[232:235], v[236:237], v[64:65], a[232:235]// 000000008F30: D3E180E8 07A281EC
	v_permlane16_swap_b32_e32 v244, v246                       // 000000008F38: 7FE8B3F6
	v_permlane16_swap_b32_e32 v245, v247                       // 000000008F3C: 7FEAB3F7
	v_mfma_f32_16x16x16_bf16 a[236:239], v[238:239], v[64:65], a[236:239]// 000000008F40: D3E180EC 07B281EE
	ds_read_b64_tr_b16 a[54:55], v21 offset:12544              // 000000008F48: DBC63100 36000015
	ds_read_b64_tr_b16 a[56:57], v21 offset:24576              // 000000008F50: DBC66000 38000015
	ds_read_b64_tr_b16 a[58:59], v21 offset:24832              // 000000008F58: DBC66100 3A000015
	v_mfma_f32_16x16x16_bf16 a[240:243], v[240:241], v[64:65], a[240:243]// 000000008F60: D3E180F0 07C281F0
	v_mov_b32_dpp v105, v104 quad_perm:[1,1,1,1] row_mask:0xf bank_mask:0xf// 000000008F68: 7ED202FA FF005568
	buffer_atomic_pk_add_bf16 v113, v9, s[32:35], 0 offen offset:768// 000000008F70: E1481300 80087109
	v_mfma_f32_16x16x16_bf16 a[244:247], v[242:243], v[64:65], a[244:247]// 000000008F78: D3E180F4 07D281F2
	ds_read_b64_tr_b16 a[60:61], v21 offset:36864              // 000000008F80: DBC69000 3C000015
	ds_read_b64_tr_b16 a[62:63], v21 offset:37120              // 000000008F88: DBC69100 3E000015
	ds_read_b64_tr_b16 v[248:249], v21 offset:49152            // 000000008F90: D9C6C000 F8000015
	v_mfma_f32_16x16x16_bf16 a[248:251], v[244:245], v[64:65], a[248:251]// 000000008F98: D3E180F8 07E281F4
	v_mov_b32_dpp v104, v104 quad_perm:[0,0,0,0] row_mask:0xf bank_mask:0xf// 000000008FA0: 7ED002FA FF000068
	v_mfma_f32_16x16x16_bf16 a[252:255], v[246:247], v[64:65], a[252:255]// 000000008FA8: D3E180FC 07F281F6
	ds_read_b64_tr_b16 v[250:251], v21 offset:49408            // 000000008FB0: D9C6C100 FA000015
	ds_read_b64_tr_b16 v[252:253], v21 offset:61440            // 000000008FB8: D9C6F000 FC000015
	ds_read_b64_tr_b16 v[254:255], v21 offset:61696            // 000000008FC0: D9C6F100 FE000015
	s_waitcnt vmcnt(6) lgkmcnt(6)                              // 000000008FC8: BF8C0676
	s_barrier                                                  // 000000008FCC: BF8A0000
	v_mfma_f32_16x16x32_bf16 v[108:111], a[0:3], v[36:39], 0   // 000000008FD0: D3B5006C 0A024900
	s_mov_b32 m0, s84                                          // 000000008FD8: BEFC0054
	buffer_load_dwordx4 v1, s[8:11], 0 idxen lds               // 000000008FDC: E05D2000 80020001
	v_mfma_f32_16x16x32_bf16 v[108:111], a[4:7], v[40:43], v[108:111]// 000000008FE4: D3B5006C 0DB25104
	ds_read_b128 v[224:227], v12 offset:12288                  // 000000008FEC: D9FE3000 E000000C
	ds_read_b128 v[228:231], v12 offset:13312                  // 000000008FF4: D9FE3400 E400000C
	v_mfma_f32_16x16x32_bf16 v[108:111], a[8:11], v[44:47], v[108:111]// 000000008FFC: D3B5006C 0DB25908
	s_mov_b32 m0, s85                                          // 000000009004: BEFC0055
	buffer_load_dword v2, s[8:11], 0 idxen lds                 // 000000009008: E0512000 80020002
	v_mfma_f32_16x16x32_bf16 v[108:111], a[12:15], v[48:51], v[108:111]// 000000009010: D3B5006C 0DB2610C
	ds_read_b128 v[232:235], v12 offset:14336                  // 000000009018: D9FE3800 E800000C
	ds_read_b128 v[236:239], v12 offset:15360                  // 000000009020: D9FE3C00 EC00000C
	v_mfma_f32_16x16x32_bf16 v[108:111], a[16:19], v[52:55], v[108:111]// 000000009028: D3B5006C 0DB26910
	s_mov_b32 m0, s86                                          // 000000009030: BEFC0056
	buffer_load_dword v3, s[8:11], 0 idxen lds                 // 000000009034: E0512000 80020003
	v_mfma_f32_16x16x32_bf16 v[108:111], a[20:23], v[56:59], v[108:111]// 00000000903C: D3B5006C 0DB27114
	ds_read_b128 v[240:243], v12 offset:16384                  // 000000009044: D9FE4000 F000000C
	ds_read_b128 v[244:247], v12 offset:17408                  // 00000000904C: D9FE4400 F400000C
	v_mfma_f32_16x16x32_bf16 v[112:115], a[24:27], v[36:39], 0 // 000000009054: D3B50070 0A024918
	s_mov_b32 m0, s100                                         // 00000000905C: BEFC0064
	buffer_load_dwordx4 v4, s[20:23], 0 idxen lds              // 000000009060: E05D2000 80050004
	v_mfma_f32_16x16x32_bf16 v[112:115], a[28:31], v[40:43], v[112:115]// 000000009068: D3B50070 0DC2511C
	ds_read_b128 a[0:3], v17                                   // 000000009070: DBFE0000 00000011
	ds_read_b128 a[4:7], v17 offset:1024                       // 000000009078: DBFE0400 04000011
	v_mfma_f32_16x16x32_bf16 v[112:115], a[32:35], v[44:47], v[112:115]// 000000009080: D3B50070 0DC25920
	v_mul_f32_e32 v108, s47, v108                              // 000000009088: 0AD8D82F
	v_mul_f32_e32 v109, s47, v109                              // 00000000908C: 0ADADA2F
	s_mov_b32 m0, s79                                          // 000000009090: BEFC004F
	buffer_load_dword v11, s[24:27], 0 idxen lds               // 000000009094: E0512000 8006000B
	v_mfma_f32_16x16x32_bf16 v[112:115], a[36:39], v[48:51], v[112:115]// 00000000909C: D3B50070 0DC26124
	ds_read_b128 a[8:11], v17 offset:2048                      // 0000000090A4: DBFE0800 08000011
	ds_read_b128 a[12:15], v17 offset:3072                     // 0000000090AC: DBFE0C00 0C000011
	v_mfma_f32_16x16x32_bf16 v[112:115], a[40:43], v[52:55], v[112:115]// 0000000090B4: D3B50070 0DC26928
	s_add_u32 s60, 64, s59                                     // 0000000090BC: 803C3BC0
	s_cmp_lt_u32 s60, s58                                      // 0000000090C0: BF0A3A3C
	s_cselect_b32 s68, s68, 0                                  // 0000000090C4: 85448044
	s_cselect_b32 s98, s98, 0                                  // 0000000090C8: 85628062
	s_cselect_b32 s69, s69, 0                                  // 0000000090CC: 85458045
	v_mfma_f32_16x16x32_bf16 v[112:115], a[44:47], v[56:59], v[112:115]// 0000000090D0: D3B50070 0DC2712C
	ds_read_b128 a[16:19], v17 offset:4096                     // 0000000090D8: DBFE1000 10000011
	ds_read_b128 a[20:23], v17 offset:5120                     // 0000000090E0: DBFE1400 14000011
	v_mfma_f32_16x16x32_bf16 v[116:119], a[48:51], v[36:39], 0 // 0000000090E8: D3B50074 0A024930
	v_add_u32_e32 v1, s68, v1                                  // 0000000090F0: 68020244
	v_add_u32_e32 v2, s68, v2                                  // 0000000090F4: 68040444
	v_add_u32_e32 v3, s68, v3                                  // 0000000090F8: 68060644
	v_add_u32_e32 v4, s98, v4                                  // 0000000090FC: 68080862
	v_add_u32_e32 v11, s69, v11                                // 000000009100: 68161645
	v_mfma_f32_16x16x32_bf16 v[116:119], a[52:55], v[40:43], v[116:119]// 000000009104: D3B50074 0DD25134
	ds_read_b128 a[24:27], v17 offset:24576                    // 00000000910C: DBFE6000 18000011
	ds_read_b128 a[28:31], v17 offset:25600                    // 000000009114: DBFE6400 1C000011
	s_waitcnt lgkmcnt(14)                                      // 00000000911C: BF8CCE7F
	v_mfma_f32_16x16x32_bf16 v[116:119], a[56:59], v[44:47], v[116:119]// 000000009120: D3B50074 0DD25938
	v_mul_f32_e32 v110, s47, v110                              // 000000009128: 0ADCDC2F
	v_mul_f32_e32 v111, s47, v111                              // 00000000912C: 0ADEDE2F
	s_cmp_ge_u32 s59, s73                                      // 000000009130: BF09493B
	s_cselect_b32 s66, s67, s66                                // 000000009134: 85424243
	v_mfma_f32_16x16x32_bf16 v[116:119], a[60:63], v[48:51], v[116:119]// 000000009138: D3B50074 0DD2613C
	ds_read_b128 a[32:35], v17 offset:26624                    // 000000009140: DBFE6800 20000011
	ds_read_b128 a[36:39], v17 offset:27648                    // 000000009148: DBFE6C00 24000011
	v_mfma_f32_16x16x32_bf16 v[116:119], v[248:251], v[52:55], v[116:119]// 000000009150: D3B50074 05D269F8
	s_addk_i32 s59, 0x10                                       // 000000009158: B73B0010
	v_mul_f32_e32 v112, s47, v112                              // 00000000915C: 0AE0E02F
	v_mul_f32_e32 v113, s47, v113                              // 000000009160: 0AE2E22F
	s_cmp_lt_i32 s59, s58                                      // 000000009164: BF043A3B
	v_mfma_f32_16x16x32_bf16 v[116:119], v[252:255], v[56:59], v[116:119]// 000000009168: D3B50074 05D271FC
	ds_read_b128 a[40:43], v17 offset:28672                    // 000000009170: DBFE7000 28000011
	ds_read_b128 a[44:47], v17 offset:29696                    // 000000009178: DBFE7400 2C000011
	s_cbranch_scc0 label_0ED1                                  // 000000009180: BF84FA61
	s_waitcnt lgkmcnt(2)                                       // 000000009184: BF8CC27F
	v_mfma_f32_16x16x32_bf16 v[36:39], v[224:227], a[0:3], 0   // 000000009188: D3B50024 120201E0
	v_add_u32_e32 v7, s66, v7                                  // 000000009190: 680E0E42
	v_add_u32_e32 v8, s66, v8                                  // 000000009194: 68101042
	v_add_u32_e32 v9, s66, v9                                  // 000000009198: 68121242
	v_mfma_f32_16x16x32_bf16 v[36:39], v[228:231], a[4:7], v[36:39]// 00000000919C: D3B50024 149209E4
	ds_read_b128 a[48:51], v17 offset:49152                    // 0000000091A4: DBFEC000 30000011
	ds_read_b128 a[52:55], v17 offset:50176                    // 0000000091AC: DBFEC400 34000011
	v_mfma_f32_16x16x32_bf16 v[36:39], v[232:235], a[8:11], v[36:39]// 0000000091B4: D3B50024 149211E8
	v_cvt_pk_bf16_f32 v108, v108, v109                         // 0000000091BC: D268006C 0002DB6C
	v_cvt_pk_bf16_f32 v109, v110, v111                         // 0000000091C4: D268006D 0002DF6E
	v_mfma_f32_16x16x32_bf16 v[36:39], v[236:239], a[12:15], v[36:39]// 0000000091CC: D3B50024 149219EC
	ds_read_b128 a[56:59], v17 offset:51200                    // 0000000091D4: DBFEC800 38000011
	ds_read_b128 a[60:63], v17 offset:52224                    // 0000000091DC: DBFECC00 3C000011
	v_mfma_f32_16x16x32_bf16 v[36:39], v[240:243], a[16:19], v[36:39]// 0000000091E4: D3B50024 149221F0
	v_mul_f32_e32 v114, s47, v114                              // 0000000091EC: 0AE4E42F
	v_mul_f32_e32 v115, s47, v115                              // 0000000091F0: 0AE6E62F
	v_mfma_f32_16x16x32_bf16 v[36:39], v[244:247], a[20:23], v[36:39]// 0000000091F4: D3B50024 149229F4
	ds_read_b128 v[248:251], v17 offset:53248                  // 0000000091FC: D9FED000 F8000011
	ds_read_b128 v[252:255], v17 offset:54272                  // 000000009204: D9FED400 FC000011
	v_mfma_f32_16x16x32_bf16 v[40:43], v[224:227], a[24:27], 0 // 00000000920C: D3B50028 120231E0
	v_mul_f32_e32 v116, s47, v116                              // 000000009214: 0AE8E82F
	v_mul_f32_e32 v117, s47, v117                              // 000000009218: 0AEAEA2F
	v_mfma_f32_16x16x32_bf16 v[40:43], v[228:231], a[28:31], v[40:43]// 00000000921C: D3B50028 14A239E4
	ds_read_b128 v[72:75], v12 offset:26624                    // 000000009224: D9FE6800 4800000C
	ds_read_b128 v[76:79], v12 offset:27648                    // 00000000922C: D9FE6C00 4C00000C
	v_mfma_f32_16x16x32_bf16 v[40:43], v[232:235], a[32:35], v[40:43]// 000000009234: D3B50028 14A241E8
	v_mul_f32_e32 v118, s47, v118                              // 00000000923C: 0AECEC2F
	v_mul_f32_e32 v119, s47, v119                              // 000000009240: 0AEEEE2F
	v_cvt_pk_bf16_f32 v110, v112, v113                         // 000000009244: D268006E 0002E370
	v_cvt_pk_bf16_f32 v111, v114, v115                         // 00000000924C: D268006F 0002E772
	v_mfma_f32_16x16x32_bf16 v[40:43], v[236:239], a[36:39], v[40:43]// 000000009254: D3B50028 14A249EC
	ds_read_b128 v[80:83], v12 offset:28672                    // 00000000925C: D9FE7000 5000000C
	ds_read_b128 v[84:87], v12 offset:29696                    // 000000009264: D9FE7400 5400000C
	s_waitcnt lgkmcnt(10)                                      // 00000000926C: BF8CCA7F
	v_mfma_f32_16x16x32_bf16 v[40:43], v[240:243], a[40:43], v[40:43]// 000000009270: D3B50028 14A251F0
	v_fma_f32 v36, v36, s57, -v104                             // 000000009278: D1CB0024 85A07324
	v_fma_f32 v37, v37, s57, -v105                             // 000000009280: D1CB0025 85A47325
	v_mfma_f32_16x16x32_bf16 v[40:43], v[244:247], a[44:47], v[40:43]// 000000009288: D3B50028 14A259F4
	ds_read_b64_tr_b16 v[88:89], v13 offset:26624              // 000000009290: D9C66800 5800000D
	ds_read_b64_tr_b16 v[90:91], v13 offset:26880              // 000000009298: D9C66900 5A00000D
	s_waitcnt lgkmcnt(10)                                      // 0000000092A0: BF8CCA7F
	v_mfma_f32_16x16x32_bf16 v[44:47], v[224:227], a[48:51], 0 // 0000000092A4: D3B5002C 120261E0
	v_fma_f32 v38, v38, s57, -v106                             // 0000000092AC: D1CB0026 85A87326
	v_fma_f32 v39, v39, s57, -v107                             // 0000000092B4: D1CB0027 85AC7327
	v_mfma_f32_16x16x32_bf16 v[44:47], v[228:231], a[52:55], v[44:47]// 0000000092BC: D3B5002C 14B269E4
	ds_read_b64_tr_b16 v[92:93], v13 offset:27648              // 0000000092C4: D9C66C00 5C00000D
	ds_read_b64_tr_b16 v[94:95], v13 offset:27904              // 0000000092CC: D9C66D00 5E00000D
	s_waitcnt lgkmcnt(10)                                      // 0000000092D4: BF8CCA7F
	v_mfma_f32_16x16x32_bf16 v[44:47], v[232:235], a[56:59], v[44:47]// 0000000092D8: D3B5002C 14B271E8
	v_fma_f32 v40, v40, s57, -v104                             // 0000000092E0: D1CB0028 85A07328
	v_fma_f32 v41, v41, s57, -v105                             // 0000000092E8: D1CB0029 85A47329
	v_cvt_pk_bf16_f32 v112, v116, v117                         // 0000000092F0: D2680070 0002EB74
	v_cvt_pk_bf16_f32 v113, v118, v119                         // 0000000092F8: D2680071 0002EF76
	v_mfma_f32_16x16x32_bf16 v[44:47], v[236:239], a[60:63], v[44:47]// 000000009300: D3B5002C 14B279EC
	ds_read_b64_tr_b16 v[96:97], v13 offset:28672              // 000000009308: D9C67000 6000000D
	ds_read_b64_tr_b16 v[98:99], v13 offset:28928              // 000000009310: D9C67100 6200000D
	s_waitcnt lgkmcnt(10)                                      // 000000009318: BF8CCA7F
	v_mfma_f32_16x16x32_bf16 v[44:47], v[240:243], v[248:251], v[44:47]// 00000000931C: D3B5002C 04B3F1F0
	v_fma_f32 v42, v42, s57, -v106                             // 000000009324: D1CB002A 85A8732A
	v_fma_f32 v43, v43, s57, -v107                             // 00000000932C: D1CB002B 85AC732B
	v_mfma_f32_16x16x32_bf16 v[44:47], v[244:247], v[252:255], v[44:47]// 000000009334: D3B5002C 04B3F9F4
	ds_read_b64_tr_b16 v[100:101], v13 offset:29696            // 00000000933C: D9C67400 6400000D
	ds_read_b64_tr_b16 v[102:103], v13 offset:29952            // 000000009344: D9C67500 6600000D
	s_cmp_eq_i32 s90, 0                                        // 00000000934C: BF00805A
	s_cbranch_scc1 label_1582                                  // 000000009350: BF85008F
	s_cmp_lt_i32 s74, 13                                       // 000000009354: BF048D4A
	s_cbranch_scc0 label_152D                                  // 000000009358: BF84003D
	s_lshl_b32 s60, s74, 4                                     // 00000000935C: 8E3C844A
	v_sub_i32 v32, v24, s60                                    // 000000009360: D29D0020 00007918
	s_mov_b32 s61, 0                                           // 000000009368: BEBD0080
	v_add_i32 v33, v32, s61                                    // 00000000936C: D29C0021 00007B20
	v_cmp_gt_i32_e64 s[60:61], v33, 0                          // 000000009374: D0C4003C 00010121
	v_cmp_gt_i32_e64 s[92:93], v33, 1                          // 00000000937C: D0C4005C 00010321
	v_cndmask_b32_e64 v36, v36, v127, s[60:61]                 // 000000009384: D1000024 00F2FF24
	v_cndmask_b32_e64 v37, v37, v127, s[92:93]                 // 00000000938C: D1000025 0172FF25
	v_cmp_gt_i32_e64 s[60:61], v33, 2                          // 000000009394: D0C4003C 00010521
	v_cmp_gt_i32_e64 s[92:93], v33, 3                          // 00000000939C: D0C4005C 00010721
	v_cndmask_b32_e64 v38, v38, v127, s[60:61]                 // 0000000093A4: D1000026 00F2FF26
	v_cndmask_b32_e64 v39, v39, v127, s[92:93]                 // 0000000093AC: D1000027 0172FF27
	s_mov_b32 s61, 64                                          // 0000000093B4: BEBD00C0
	v_add_i32 v33, v32, s61                                    // 0000000093B8: D29C0021 00007B20
	v_cmp_gt_i32_e64 s[60:61], v33, 0                          // 0000000093C0: D0C4003C 00010121
	v_cmp_gt_i32_e64 s[92:93], v33, 1                          // 0000000093C8: D0C4005C 00010321
	v_cndmask_b32_e64 v40, v40, v127, s[60:61]                 // 0000000093D0: D1000028 00F2FF28
	v_cndmask_b32_e64 v41, v41, v127, s[92:93]                 // 0000000093D8: D1000029 0172FF29
	v_cmp_gt_i32_e64 s[60:61], v33, 2                          // 0000000093E0: D0C4003C 00010521
	v_cmp_gt_i32_e64 s[92:93], v33, 3                          // 0000000093E8: D0C4005C 00010721
	v_cndmask_b32_e64 v42, v42, v127, s[60:61]                 // 0000000093F0: D100002A 00F2FF2A
	v_cndmask_b32_e64 v43, v43, v127, s[92:93]                 // 0000000093F8: D100002B 0172FF2B
	s_mov_b32 s61, 0x80                                        // 000000009400: BEBD00FF 00000080
	v_add_i32 v33, v32, s61                                    // 000000009408: D29C0021 00007B20
	v_cmp_gt_i32_e64 s[60:61], v33, 0                          // 000000009410: D0C4003C 00010121
	v_cmp_gt_i32_e64 s[92:93], v33, 1                          // 000000009418: D0C4005C 00010321
	v_cndmask_b32_e64 v44, v44, v127, s[60:61]                 // 000000009420: D100002C 00F2FF2C
	v_cndmask_b32_e64 v45, v45, v127, s[92:93]                 // 000000009428: D100002D 0172FF2D
	v_cmp_gt_i32_e64 s[60:61], v33, 2                          // 000000009430: D0C4003C 00010521
	v_cmp_gt_i32_e64 s[92:93], v33, 3                          // 000000009438: D0C4005C 00010721
	v_cndmask_b32_e64 v46, v46, v127, s[60:61]                 // 000000009440: D100002E 00F2FF2E
	v_cndmask_b32_e64 v47, v47, v127, s[92:93]                 // 000000009448: D100002F 0172FF2F

0000000000009450 <label_152D>:
	s_cmp_lt_i32 s64, 0xc0                                     // 000000009450: BF04FF40 000000C0
	s_cbranch_scc0 label_1582                                  // 000000009458: BF84004D
	s_cmp_le_i32 s64, 64                                       // 00000000945C: BF05C040
	s_cbranch_scc1 label_1539                                  // 000000009460: BF850007
	s_cmp_le_i32 s64, 0x80                                     // 000000009464: BF05FF40 00000080
	s_cbranch_scc1 label_1551                                  // 00000000946C: BF850017
	s_cmp_lt_i32 s64, 0xc0                                     // 000000009470: BF04FF40 000000C0
	s_cbranch_scc1 label_1569                                  // 000000009478: BF85002C
	s_branch label_1582                                        // 00000000947C: BF820044

0000000000009480 <label_1539>:
	s_mov_b32 s60, 0                                           // 000000009480: BEBC0080
	v_and_b32_e32 v32, 15, v0                                  // 000000009484: 2640008F
	v_add_u32_e64 v32, v32, s60                                // 000000009488: D1340020 00007920
	v_mul_i32_i24_e64 v33, s46, 16                             // 000000009490: D1060021 0001202E
	v_add_u32_e32 v32, v32, v33                                // 000000009498: 68404320
	v_cmp_lt_u32_e64 s[60:61], v32, s64                        // 00000000949C: D0C9003C 00008120
	s_nop 1                                                    // 0000000094A4: BF800001
	v_cndmask_b32_e64 v36, v127, v36, s[60:61]                 // 0000000094A8: D1000024 00F2497F
	v_cndmask_b32_e64 v37, v127, v37, s[60:61]                 // 0000000094B0: D1000025 00F24B7F
	v_cndmask_b32_e64 v38, v127, v38, s[60:61]                 // 0000000094B8: D1000026 00F24D7F
	v_cndmask_b32_e64 v39, v127, v39, s[60:61]                 // 0000000094C0: D1000027 00F24F7F
	s_branch label_1564                                        // 0000000094C8: BF820013

00000000000094cc <label_1551>:
	s_mov_b32 s60, 64                                          // 0000000094CC: BEBC00C0
	v_and_b32_e32 v32, 15, v0                                  // 0000000094D0: 2640008F
	v_add_u32_e64 v32, v32, s60                                // 0000000094D4: D1340020 00007920
	v_mul_i32_i24_e64 v33, s46, 16                             // 0000000094DC: D1060021 0001202E
	v_add_u32_e32 v32, v32, v33                                // 0000000094E4: 68404320
	v_cmp_lt_u32_e64 s[60:61], v32, s64                        // 0000000094E8: D0C9003C 00008120
	s_nop 1                                                    // 0000000094F0: BF800001
	v_cndmask_b32_e64 v40, v127, v40, s[60:61]                 // 0000000094F4: D1000028 00F2517F
	v_cndmask_b32_e64 v41, v127, v41, s[60:61]                 // 0000000094FC: D1000029 00F2537F
	v_cndmask_b32_e64 v42, v127, v42, s[60:61]                 // 000000009504: D100002A 00F2557F
	v_cndmask_b32_e64 v43, v127, v43, s[60:61]                 // 00000000950C: D100002B 00F2577F
	s_branch label_157D                                        // 000000009514: BF820019

0000000000009518 <label_1564>:
	v_mov_b32_e32 v40, v127                                    // 000000009518: 7E50037F
	v_mov_b32_e32 v41, v127                                    // 00000000951C: 7E52037F
	v_mov_b32_e32 v42, v127                                    // 000000009520: 7E54037F
	v_mov_b32_e32 v43, v127                                    // 000000009524: 7E56037F
	s_branch label_157D                                        // 000000009528: BF820014

000000000000952c <label_1569>:
	s_mov_b32 s60, 0x80                                        // 00000000952C: BEBC00FF 00000080
	v_and_b32_e32 v32, 15, v0                                  // 000000009534: 2640008F
	v_add_u32_e64 v32, v32, s60                                // 000000009538: D1340020 00007920
	v_mul_i32_i24_e64 v33, s46, 16                             // 000000009540: D1060021 0001202E
	v_add_u32_e32 v32, v32, v33                                // 000000009548: 68404320
	v_cmp_lt_u32_e64 s[60:61], v32, s64                        // 00000000954C: D0C9003C 00008120
	s_nop 1                                                    // 000000009554: BF800001
	v_cndmask_b32_e64 v44, v127, v44, s[60:61]                 // 000000009558: D100002C 00F2597F
	v_cndmask_b32_e64 v45, v127, v45, s[60:61]                 // 000000009560: D100002D 00F25B7F
	v_cndmask_b32_e64 v46, v127, v46, s[60:61]                 // 000000009568: D100002E 00F25D7F
	v_cndmask_b32_e64 v47, v127, v47, s[60:61]                 // 000000009570: D100002F 00F25F7F
	s_branch label_1582                                        // 000000009578: BF820005

000000000000957c <label_157D>:
	v_mov_b32_e32 v44, v127                                    // 00000000957C: 7E58037F
	v_mov_b32_e32 v45, v127                                    // 000000009580: 7E5A037F
	v_mov_b32_e32 v46, v127                                    // 000000009584: 7E5C037F
	v_mov_b32_e32 v47, v127                                    // 000000009588: 7E5E037F
	s_branch label_1582                                        // 00000000958C: BF820000

0000000000009590 <label_1582>:
	s_addk_i32 s74, 0x1                                        // 000000009590: B74A0001
	s_waitcnt lgkmcnt(8)                                       // 000000009594: BF8CC87F
	v_mfma_f32_16x16x32_bf16 v[60:63], v[72:75], a[64:67], 0   // 000000009598: D3B5003C 12028148
	v_exp_f32_e32 v36, v36                                     // 0000000095A0: 7E484124
	v_exp_f32_e32 v37, v37                                     // 0000000095A4: 7E4A4125
	v_mfma_f32_16x16x32_bf16 v[60:63], v[76:79], a[68:71], v[60:63]// 0000000095A8: D3B5003C 14F2894C
	v_exp_f32_e32 v38, v38                                     // 0000000095B0: 7E4C4126
	v_exp_f32_e32 v39, v39                                     // 0000000095B4: 7E4E4127
	v_mfma_f32_16x16x32_bf16 v[60:63], v[80:83], a[72:75], v[60:63]// 0000000095B8: D3B5003C 14F29150
	v_fma_f32 v44, v44, s57, -v104                             // 0000000095C0: D1CB002C 85A0732C
	v_fma_f32 v45, v45, s57, -v105                             // 0000000095C8: D1CB002D 85A4732D
	v_exp_f32_e32 v40, v40                                     // 0000000095D0: 7E504128
	v_exp_f32_e32 v41, v41                                     // 0000000095D4: 7E524129
	buffer_atomic_pk_add_bf16 v108, v7, s[32:35], 0 offen      // 0000000095D8: E1481000 80086C07
	v_mfma_f32_16x16x32_bf16 v[60:63], v[84:87], a[76:79], v[60:63]// 0000000095E0: D3B5003C 14F29954
	ds_read_b64_tr_b16 v[224:225], v13 offset:12288            // 0000000095E8: D9C63000 E000000D
	ds_read_b64_tr_b16 v[226:227], v13 offset:12544            // 0000000095F0: D9C63100 E200000D
	ds_read_b64_tr_b16 v[228:229], v13 offset:13312            // 0000000095F8: D9C63400 E400000D
	ds_read_b64_tr_b16 v[230:231], v13 offset:13568            // 000000009600: D9C63500 E600000D
	v_mfma_f32_16x16x32_bf16 v[64:67], v[72:75], a[80:83], 0   // 000000009608: D3B50040 1202A148
	v_fma_f32 v46, v46, s57, -v106                             // 000000009610: D1CB002E 85A8732E
	v_fma_f32 v47, v47, s57, -v107                             // 000000009618: D1CB002F 85AC732F
	v_exp_f32_e32 v42, v42                                     // 000000009620: 7E54412A
	v_exp_f32_e32 v43, v43                                     // 000000009624: 7E56412B
	v_mfma_f32_16x16x32_bf16 v[64:67], v[76:79], a[84:87], v[64:67]// 000000009628: D3B50040 1502A94C
	ds_read_b64_tr_b16 v[232:233], v13 offset:14336            // 000000009630: D9C63800 E800000D
	ds_read_b64_tr_b16 v[234:235], v13 offset:14592            // 000000009638: D9C63900 EA00000D
	ds_read_b64_tr_b16 v[236:237], v13 offset:15360            // 000000009640: D9C63C00 EC00000D
	ds_read_b64_tr_b16 v[238:239], v13 offset:15616            // 000000009648: D9C63D00 EE00000D
	v_mfma_f32_16x16x32_bf16 v[64:67], v[80:83], a[88:91], v[64:67]// 000000009650: D3B50040 1502B150
	v_exp_f32_e32 v44, v44                                     // 000000009658: 7E58412C
	v_exp_f32_e32 v45, v45                                     // 00000000965C: 7E5A412D
	v_mfma_f32_16x16x32_bf16 v[64:67], v[84:87], a[92:95], v[64:67]// 000000009660: D3B50040 1502B954
	v_cvt_pk_bf16_f32 v120, v36, v37                           // 000000009668: D2680078 00024B24
	v_cvt_pk_bf16_f32 v121, v38, v39                           // 000000009670: D2680079 00024F26
	v_cvt_pk_bf16_f32 v122, v40, v41                           // 000000009678: D268007A 00025328
	v_cvt_pk_bf16_f32 v123, v42, v43                           // 000000009680: D268007B 0002572A
	v_mfma_f32_16x16x32_bf16 v[68:71], v[72:75], a[96:99], 0   // 000000009688: D3B50044 1202C148
	v_exp_f32_e32 v46, v46                                     // 000000009690: 7E5C412E
	v_exp_f32_e32 v47, v47                                     // 000000009694: 7E5E412F
	v_mfma_f32_16x16x32_bf16 v[68:71], v[76:79], a[100:103], v[68:71]// 000000009698: D3B50044 1512C94C
	v_permlane16_swap_b32_e32 v120, v122                       // 0000000096A0: 7EF0B37A
	v_permlane16_swap_b32_e32 v121, v123                       // 0000000096A4: 7EF2B37B
	v_mfma_f32_16x16x32_bf16 v[68:71], v[80:83], a[104:107], v[68:71]// 0000000096A8: D3B50044 1512D150
	v_cvt_pk_bf16_f32 v124, v44, v45                           // 0000000096B0: D268007C 00025B2C
	v_cvt_pk_bf16_f32 v125, v46, v47                           // 0000000096B8: D268007D 00025F2E
	buffer_atomic_pk_add_bf16 v109, v7, s[32:35], 0 offen offset:768// 0000000096C0: E1481300 80086D07
	v_mfma_f32_16x16x32_bf16 v[68:71], v[84:87], a[108:111], v[68:71]// 0000000096C8: D3B50044 1512D954
	ds_read_b64_tr_b16 v[240:241], v13 offset:16384            // 0000000096D0: D9C64000 F000000D
	ds_read_b64_tr_b16 v[242:243], v13 offset:16640            // 0000000096D8: D9C64100 F200000D
	ds_read_b64_tr_b16 v[244:245], v13 offset:17408            // 0000000096E0: D9C64400 F400000D
	ds_read_b64_tr_b16 v[246:247], v13 offset:17664            // 0000000096E8: D9C64500 F600000D
	s_waitcnt lgkmcnt(12)                                      // 0000000096F0: BF8CCC7F
	v_mfma_f32_32x32x16_bf16 v[128:143], v[88:91], v[120:123], v[128:143]// 0000000096F4: D3B70080 0602F158
	v_subrev_f32_dpp v60, v126, v60 quad_perm:[0,0,0,0] row_mask:0xf bank_mask:0xf// 0000000096FC: 067878FA FF00007E
	v_subrev_f32_dpp v61, v126, v61 quad_perm:[1,1,1,1] row_mask:0xf bank_mask:0xf// 000000009704: 067A7AFA FF00557E
	v_subrev_f32_dpp v62, v126, v62 quad_perm:[2,2,2,2] row_mask:0xf bank_mask:0xf// 00000000970C: 067C7CFA FF00AA7E
	v_subrev_f32_dpp v63, v126, v63 quad_perm:[3,3,3,3] row_mask:0xf bank_mask:0xf// 000000009714: 067E7EFA FF00FF7E
	v_subrev_f32_dpp v64, v126, v64 quad_perm:[0,0,0,0] row_mask:0xf bank_mask:0xf// 00000000971C: 068080FA FF00007E
	v_subrev_f32_dpp v65, v126, v65 quad_perm:[1,1,1,1] row_mask:0xf bank_mask:0xf// 000000009724: 068282FA FF00557E
	v_subrev_f32_dpp v66, v126, v66 quad_perm:[2,2,2,2] row_mask:0xf bank_mask:0xf// 00000000972C: 068484FA FF00AA7E
	v_subrev_f32_dpp v67, v126, v67 quad_perm:[3,3,3,3] row_mask:0xf bank_mask:0xf// 000000009734: 068686FA FF00FF7E
	v_mul_f32_e32 v60, v36, v60                                // 00000000973C: 0A787924
	v_mul_f32_e32 v61, v37, v61                                // 000000009740: 0A7A7B25
	v_mul_f32_e32 v62, v38, v62                                // 000000009744: 0A7C7D26
	v_mul_f32_e32 v63, v39, v63                                // 000000009748: 0A7E7F27
	v_mfma_f32_32x32x16_bf16 v[144:159], v[92:95], v[120:123], v[144:159]// 00000000974C: D3B70090 0642F15C
	ds_read_b64_tr_b16 a[0:1], v19                             // 000000009754: DBC60000 00000013
	ds_read_b64_tr_b16 a[2:3], v19 offset:256                  // 00000000975C: DBC60100 02000013
	ds_read_b64_tr_b16 a[4:5], v19 offset:12288                // 000000009764: DBC63000 04000013
	ds_read_b64_tr_b16 a[6:7], v19 offset:12544                // 00000000976C: DBC63100 06000013
	ds_read_b64_tr_b16 a[8:9], v19 offset:24576                // 000000009774: DBC66000 08000013
	buffer_atomic_pk_add_bf16 v110, v8, s[32:35], 0 offen      // 00000000977C: E1481000 80086E08
	v_mfma_f32_32x32x16_bf16 v[160:175], v[96:99], v[120:123], v[160:175]// 000000009784: D3B700A0 0682F160
	v_mul_f32_e32 v64, v40, v64                                // 00000000978C: 0A808128
	v_mul_f32_e32 v65, v41, v65                                // 000000009790: 0A828329
	v_mul_f32_e32 v66, v42, v66                                // 000000009794: 0A84852A
	v_mul_f32_e32 v67, v43, v67                                // 000000009798: 0A86872B
	v_permlane16_swap_b32_e32 v88, v90                         // 00000000979C: 7EB0B35A
	v_permlane16_swap_b32_e32 v89, v91                         // 0000000097A0: 7EB2B35B
	v_cvt_pk_bf16_f32 v60, v60, v61                            // 0000000097A4: D268003C 00027B3C
	v_cvt_pk_bf16_f32 v61, v62, v63                            // 0000000097AC: D268003D 00027F3E
	v_cvt_pk_bf16_f32 v62, v64, v65                            // 0000000097B4: D268003E 00028340
	v_cvt_pk_bf16_f32 v63, v66, v67                            // 0000000097BC: D268003F 00028742
	v_permlane16_swap_b32_e32 v92, v94                         // 0000000097C4: 7EB8B35E
	v_permlane16_swap_b32_e32 v93, v95                         // 0000000097C8: 7EBAB35F
	v_mfma_f32_32x32x16_bf16 v[176:191], v[100:103], v[120:123], v[176:191]// 0000000097CC: D3B700B0 06C2F164
	ds_read_b64_tr_b16 a[10:11], v19 offset:24832              // 0000000097D4: DBC66100 0A000013
	ds_read_b64_tr_b16 a[12:13], v19 offset:36864              // 0000000097DC: DBC69000 0C000013
	ds_read_b64_tr_b16 a[14:15], v19 offset:37120              // 0000000097E4: DBC69100 0E000013
	ds_read_b64_tr_b16 a[16:17], v19 offset:49152              // 0000000097EC: DBC6C000 10000013
	ds_read_b64_tr_b16 a[18:19], v19 offset:49408              // 0000000097F4: DBC6C100 12000013
	ds_read_b32 v104, v16 offset:37632                         // 0000000097FC: D86C9300 68000010
	v_mfma_f32_16x16x16_bf16 v[192:195], v[88:89], v[124:125], v[192:195]// 000000009804: D3E100C0 0702F958
	v_permlane16_swap_b32_e32 v96, v98                         // 00000000980C: 7EC0B362
	v_permlane16_swap_b32_e32 v97, v99                         // 000000009810: 7EC2B363
	v_subrev_f32_dpp v68, v126, v68 quad_perm:[0,0,0,0] row_mask:0xf bank_mask:0xf// 000000009814: 068888FA FF00007E
	v_subrev_f32_dpp v69, v126, v69 quad_perm:[1,1,1,1] row_mask:0xf bank_mask:0xf// 00000000981C: 068A8AFA FF00557E
	v_mfma_f32_16x16x16_bf16 v[196:199], v[90:91], v[124:125], v[196:199]// 000000009824: D3E100C4 0712F95A
	buffer_atomic_pk_add_bf16 v111, v8, s[32:35], 0 offen offset:768// 00000000982C: E1481300 80086F08
	ds_write_b64 v15, v[60:61] offset:30720                    // 000000009834: D89A7800 00003C0F
	ds_write_b64 v15, v[62:63] offset:33024                    // 00000000983C: D89A8100 00003E0F
	v_mfma_f32_16x16x16_bf16 v[200:203], v[92:93], v[124:125], v[200:203]// 000000009844: D3E100C8 0722F95C
	v_permlane16_swap_b32_e32 v100, v102                       // 00000000984C: 7EC8B366
	v_permlane16_swap_b32_e32 v101, v103                       // 000000009850: 7ECAB367
	v_subrev_f32_dpp v70, v126, v70 quad_perm:[2,2,2,2] row_mask:0xf bank_mask:0xf// 000000009854: 068C8CFA FF00AA7E
	v_subrev_f32_dpp v71, v126, v71 quad_perm:[3,3,3,3] row_mask:0xf bank_mask:0xf// 00000000985C: 068E8EFA FF00FF7E
	v_mfma_f32_16x16x16_bf16 v[204:207], v[94:95], v[124:125], v[204:207]// 000000009864: D3E100CC 0732F95E
	v_permlane16_swap_b32_e32 v60, v62                         // 00000000986C: 7E78B33E
	v_permlane16_swap_b32_e32 v61, v63                         // 000000009870: 7E7AB33F
	v_mfma_f32_16x16x16_bf16 v[208:211], v[96:97], v[124:125], v[208:211]// 000000009874: D3E100D0 0742F960
	v_mul_f32_e32 v68, v44, v68                                // 00000000987C: 0A88892C
	v_mul_f32_e32 v69, v45, v69                                // 000000009880: 0A8A8B2D
	v_mul_f32_e32 v70, v46, v70                                // 000000009884: 0A8C8D2E
	v_mfma_f32_16x16x16_bf16 v[212:215], v[98:99], v[124:125], v[212:215]// 000000009888: D3E100D4 0752F962
	ds_read_b64_tr_b16 a[20:21], v19 offset:61440              // 000000009890: DBC6F000 14000013
	ds_read_b64_tr_b16 a[22:23], v19 offset:61696              // 000000009898: DBC6F100 16000013
	ds_read_b64_tr_b16 a[24:25], v20                           // 0000000098A0: DBC60000 18000014
	v_mfma_f32_16x16x16_bf16 v[216:219], v[100:101], v[124:125], v[216:219]// 0000000098A8: D3E100D8 0762F964
	v_mul_f32_e32 v71, v47, v71                                // 0000000098B0: 0A8E8F2F
	v_cvt_pk_bf16_f32 v64, v68, v69                            // 0000000098B4: D2680040 00028B44
	v_cvt_pk_bf16_f32 v65, v70, v71                            // 0000000098BC: D2680041 00028F46
	v_mfma_f32_16x16x16_bf16 v[220:223], v[102:103], v[124:125], v[220:223]// 0000000098C4: D3E100DC 0772F966
	ds_read_b32 v126, v16 offset:37888                         // 0000000098CC: D86C9400 7E000010
	ds_read_b64_tr_b16 a[26:27], v20 offset:256                // 0000000098D4: DBC60100 1A000014
	ds_read_b64_tr_b16 a[28:29], v20 offset:12288              // 0000000098DC: DBC63000 1C000014
	s_waitcnt lgkmcnt(8)                                       // 0000000098E4: BF8CC87F
	v_mfma_f32_32x32x16_bf16 a[112:127], v[224:227], v[60:63], a[112:127]// 0000000098E8: D3B78070 05C279E0
	v_cmp_eq_f32_e32 vcc, v127, v104                           // 0000000098F0: 7C84D17F
	v_cndmask_b32_e64 v104, v104, 0, vcc                       // 0000000098F4: D1000068 01A90168
	v_mul_f32_e32 v104, s48, v104                              // 0000000098FC: 0AD0D030
	buffer_atomic_pk_add_bf16 v112, v9, s[32:35], 0 offen      // 000000009900: E1481000 80087009
	v_mfma_f32_32x32x16_bf16 a[128:143], v[228:231], v[60:63], a[128:143]// 000000009908: D3B78080 060279E4
	ds_read_b64_tr_b16 a[30:31], v20 offset:12544              // 000000009910: DBC63100 1E000014
	ds_write_b64 v15, v[64:65] offset:35328                    // 000000009918: D89A8A00 0000400F
	ds_read_b64_tr_b16 a[32:33], v20 offset:24576              // 000000009920: DBC66000 20000014
	ds_read_b64_tr_b16 a[34:35], v20 offset:24832              // 000000009928: DBC66100 22000014
	v_mfma_f32_32x32x16_bf16 a[144:159], v[232:235], v[60:63], a[144:159]// 000000009930: D3B78090 064279E8
	.long 0x7fc0b3e2                                           // 000000009938: 7FC0B3E2
	.long 0x7fc2b3e3                                           // 00000000993C: 7FC2B3E3
	v_mfma_f32_32x32x16_bf16 a[160:175], v[236:239], v[60:63], a[160:175]// 000000009940: D3B780A0 068279EC
	ds_read_b64_tr_b16 a[36:37], v20 offset:36864              // 000000009948: DBC69000 24000014
	ds_read_b64_tr_b16 a[38:39], v20 offset:37120              // 000000009950: DBC69100 26000014
	ds_read_b64_tr_b16 a[40:41], v20 offset:49152              // 000000009958: DBC6C000 28000014
	ds_read_b64_tr_b16 a[42:43], v20 offset:49408              // 000000009960: DBC6C100 2A000014
	ds_read_b64_tr_b16 a[44:45], v20 offset:61440              // 000000009968: DBC6F000 2C000014
	ds_read_b64_tr_b16 a[46:47], v20 offset:61696              // 000000009970: DBC6F100 2E000014
	s_waitcnt lgkmcnt(8)                                       // 000000009978: BF8CC87F
	s_barrier                                                  // 00000000997C: BF8A0000
	v_mfma_f32_32x32x16_bf16 a[176:191], v[240:243], v[60:63], a[176:191]// 000000009980: D3B780B0 06C279F0
	.long 0x7fc8b3e6                                           // 000000009988: 7FC8B3E6
	.long 0x7fcab3e7                                           // 00000000998C: 7FCAB3E7
	v_mov_b32_dpp v107, v104 quad_perm:[3,3,3,3] row_mask:0xf bank_mask:0xf// 000000009990: 7ED602FA FF00FF68
	v_mov_b32_dpp v106, v104 quad_perm:[2,2,2,2] row_mask:0xf bank_mask:0xf// 000000009998: 7ED402FA FF00AA68
	v_mfma_f32_32x32x16_bf16 a[192:207], v[244:247], v[60:63], a[192:207]// 0000000099A0: D3B780C0 070279F4
	ds_read_b64_tr_b16 v[36:37], v14 offset:30720              // 0000000099A8: D9C67800 2400000E
	ds_read_b64_tr_b16 v[38:39], v14 offset:30752              // 0000000099B0: D9C67820 2600000E
	ds_read_b64_tr_b16 v[40:41], v14 offset:31872              // 0000000099B8: D9C67C80 2800000E
	ds_read_b64_tr_b16 v[42:43], v14 offset:31904              // 0000000099C0: D9C67CA0 2A00000E
	ds_read_b64_tr_b16 v[44:45], v14 offset:33024              // 0000000099C8: D9C68100 2C00000E
	ds_read_b64_tr_b16 v[46:47], v14 offset:33056              // 0000000099D0: D9C68120 2E00000E
	v_mfma_f32_16x16x16_bf16 a[208:211], v[224:225], v[64:65], a[208:211]// 0000000099D8: D3E180D0 074281E0
	.long 0x7fd0b3ea                                           // 0000000099E0: 7FD0B3EA
	.long 0x7fd2b3eb                                           // 0000000099E4: 7FD2B3EB
	v_mfma_f32_16x16x16_bf16 a[212:215], v[226:227], v[64:65], a[212:215]// 0000000099E8: D3E180D4 075281E2
	ds_read_b64_tr_b16 v[48:49], v14 offset:34176              // 0000000099F0: D9C68580 3000000E
	ds_read_b64_tr_b16 v[50:51], v14 offset:34208              // 0000000099F8: D9C685A0 3200000E
	ds_read_b64_tr_b16 v[52:53], v14 offset:35328              // 000000009A00: D9C68A00 3400000E
	v_mfma_f32_16x16x16_bf16 a[216:219], v[228:229], v[64:65], a[216:219]// 000000009A08: D3E180D8 076281E4
	v_permlane16_swap_b32_e32 v236, v238                       // 000000009A10: 7FD8B3EE
	v_permlane16_swap_b32_e32 v237, v239                       // 000000009A14: 7FDAB3EF
	v_mfma_f32_16x16x16_bf16 a[220:223], v[230:231], v[64:65], a[220:223]// 000000009A18: D3E180DC 077281E6
	ds_read_b64_tr_b16 v[54:55], v14 offset:35360              // 000000009A20: D9C68A20 3600000E
	ds_read_b64_tr_b16 v[56:57], v14 offset:36480              // 000000009A28: D9C68E80 3800000E
	ds_read_b64_tr_b16 v[58:59], v14 offset:36512              // 000000009A30: D9C68EA0 3A00000E
	v_mfma_f32_16x16x16_bf16 a[224:227], v[232:233], v[64:65], a[224:227]// 000000009A38: D3E180E0 078281E8
	v_permlane16_swap_b32_e32 v240, v242                       // 000000009A40: 7FE0B3F2
	v_permlane16_swap_b32_e32 v241, v243                       // 000000009A44: 7FE2B3F3
	v_mfma_f32_16x16x16_bf16 a[228:231], v[234:235], v[64:65], a[228:231]// 000000009A48: D3E180E4 079281EA
	ds_read_b64_tr_b16 a[48:49], v21                           // 000000009A50: DBC60000 30000015
	ds_read_b64_tr_b16 a[50:51], v21 offset:256                // 000000009A58: DBC60100 32000015
	ds_read_b64_tr_b16 a[52:53], v21 offset:12288              // 000000009A60: DBC63000 34000015
	v_mfma_f32_16x16x16_bf16 a[232:235], v[236:237], v[64:65], a[232:235]// 000000009A68: D3E180E8 07A281EC
	v_permlane16_swap_b32_e32 v244, v246                       // 000000009A70: 7FE8B3F6
	v_permlane16_swap_b32_e32 v245, v247                       // 000000009A74: 7FEAB3F7
	v_mfma_f32_16x16x16_bf16 a[236:239], v[238:239], v[64:65], a[236:239]// 000000009A78: D3E180EC 07B281EE
	ds_read_b64_tr_b16 a[54:55], v21 offset:12544              // 000000009A80: DBC63100 36000015
	ds_read_b64_tr_b16 a[56:57], v21 offset:24576              // 000000009A88: DBC66000 38000015
	ds_read_b64_tr_b16 a[58:59], v21 offset:24832              // 000000009A90: DBC66100 3A000015
	v_mfma_f32_16x16x16_bf16 a[240:243], v[240:241], v[64:65], a[240:243]// 000000009A98: D3E180F0 07C281F0
	v_mov_b32_dpp v105, v104 quad_perm:[1,1,1,1] row_mask:0xf bank_mask:0xf// 000000009AA0: 7ED202FA FF005568
	buffer_atomic_pk_add_bf16 v113, v9, s[32:35], 0 offen offset:768// 000000009AA8: E1481300 80087109
	v_mfma_f32_16x16x16_bf16 a[244:247], v[242:243], v[64:65], a[244:247]// 000000009AB0: D3E180F4 07D281F2
	ds_read_b64_tr_b16 a[60:61], v21 offset:36864              // 000000009AB8: DBC69000 3C000015
	ds_read_b64_tr_b16 a[62:63], v21 offset:37120              // 000000009AC0: DBC69100 3E000015
	ds_read_b64_tr_b16 v[248:249], v21 offset:49152            // 000000009AC8: D9C6C000 F8000015
	v_mfma_f32_16x16x16_bf16 a[248:251], v[244:245], v[64:65], a[248:251]// 000000009AD0: D3E180F8 07E281F4
	v_mov_b32_dpp v104, v104 quad_perm:[0,0,0,0] row_mask:0xf bank_mask:0xf// 000000009AD8: 7ED002FA FF000068
	v_mfma_f32_16x16x16_bf16 a[252:255], v[246:247], v[64:65], a[252:255]// 000000009AE0: D3E180FC 07F281F6
	ds_read_b64_tr_b16 v[250:251], v21 offset:49408            // 000000009AE8: D9C6C100 FA000015
	ds_read_b64_tr_b16 v[252:253], v21 offset:61440            // 000000009AF0: D9C6F000 FC000015
	ds_read_b64_tr_b16 v[254:255], v21 offset:61696            // 000000009AF8: D9C6F100 FE000015
	s_waitcnt vmcnt(6) lgkmcnt(6)                              // 000000009B00: BF8C0676
	s_barrier                                                  // 000000009B04: BF8A0000
	v_mfma_f32_16x16x32_bf16 v[108:111], a[0:3], v[36:39], 0   // 000000009B08: D3B5006C 0A024900
	s_mov_b32 m0, s87                                          // 000000009B10: BEFC0057
	buffer_load_dwordx4 v1, s[8:11], 0 idxen lds               // 000000009B14: E05D2000 80020001
	v_mfma_f32_16x16x32_bf16 v[108:111], a[4:7], v[40:43], v[108:111]// 000000009B1C: D3B5006C 0DB25104
	ds_read_b128 v[224:227], v12                               // 000000009B24: D9FE0000 E000000C
	ds_read_b128 v[228:231], v12 offset:1024                   // 000000009B2C: D9FE0400 E400000C
	v_mfma_f32_16x16x32_bf16 v[108:111], a[8:11], v[44:47], v[108:111]// 000000009B34: D3B5006C 0DB25908
	s_mov_b32 m0, s88                                          // 000000009B3C: BEFC0058
	buffer_load_dword v2, s[8:11], 0 idxen lds                 // 000000009B40: E0512000 80020002
	v_mfma_f32_16x16x32_bf16 v[108:111], a[12:15], v[48:51], v[108:111]// 000000009B48: D3B5006C 0DB2610C
	ds_read_b128 v[232:235], v12 offset:2048                   // 000000009B50: D9FE0800 E800000C
	ds_read_b128 v[236:239], v12 offset:3072                   // 000000009B58: D9FE0C00 EC00000C
	v_mfma_f32_16x16x32_bf16 v[108:111], a[16:19], v[52:55], v[108:111]// 000000009B60: D3B5006C 0DB26910
	s_mov_b32 m0, s89                                          // 000000009B68: BEFC0059
	buffer_load_dword v3, s[8:11], 0 idxen lds                 // 000000009B6C: E0512000 80020003
	v_mfma_f32_16x16x32_bf16 v[108:111], a[20:23], v[56:59], v[108:111]// 000000009B74: D3B5006C 0DB27114
	ds_read_b128 v[240:243], v12 offset:4096                   // 000000009B7C: D9FE1000 F000000C
	ds_read_b128 v[244:247], v12 offset:5120                   // 000000009B84: D9FE1400 F400000C
	v_mfma_f32_16x16x32_bf16 v[112:115], a[24:27], v[36:39], 0 // 000000009B8C: D3B50070 0A024918
	s_mov_b32 m0, s101                                         // 000000009B94: BEFC0065
	buffer_load_dwordx4 v4, s[20:23], 0 idxen lds              // 000000009B98: E05D2000 80050004
	v_mfma_f32_16x16x32_bf16 v[112:115], a[28:31], v[40:43], v[112:115]// 000000009BA0: D3B50070 0DC2511C
	ds_read_b128 a[0:3], v17                                   // 000000009BA8: DBFE0000 00000011
	ds_read_b128 a[4:7], v17 offset:1024                       // 000000009BB0: DBFE0400 04000011
	v_mfma_f32_16x16x32_bf16 v[112:115], a[32:35], v[44:47], v[112:115]// 000000009BB8: D3B50070 0DC25920
	v_mul_f32_e32 v108, s47, v108                              // 000000009BC0: 0AD8D82F
	v_mul_f32_e32 v109, s47, v109                              // 000000009BC4: 0ADADA2F
	s_mov_b32 m0, s80                                          // 000000009BC8: BEFC0050
	buffer_load_dword v11, s[24:27], 0 idxen lds               // 000000009BCC: E0512000 8006000B
	v_mfma_f32_16x16x32_bf16 v[112:115], a[36:39], v[48:51], v[112:115]// 000000009BD4: D3B50070 0DC26124
	ds_read_b128 a[8:11], v17 offset:2048                      // 000000009BDC: DBFE0800 08000011
	ds_read_b128 a[12:15], v17 offset:3072                     // 000000009BE4: DBFE0C00 0C000011
	v_mfma_f32_16x16x32_bf16 v[112:115], a[40:43], v[52:55], v[112:115]// 000000009BEC: D3B50070 0DC26928
	s_add_u32 s60, 64, s59                                     // 000000009BF4: 803C3BC0
	s_cmp_lt_u32 s60, s58                                      // 000000009BF8: BF0A3A3C
	s_cselect_b32 s68, s68, 0                                  // 000000009BFC: 85448044
	s_cselect_b32 s98, s98, 0                                  // 000000009C00: 85628062
	s_cselect_b32 s69, s69, 0                                  // 000000009C04: 85458045
	v_mfma_f32_16x16x32_bf16 v[112:115], a[44:47], v[56:59], v[112:115]// 000000009C08: D3B50070 0DC2712C
	ds_read_b128 a[16:19], v17 offset:4096                     // 000000009C10: DBFE1000 10000011
	ds_read_b128 a[20:23], v17 offset:5120                     // 000000009C18: DBFE1400 14000011
	v_mfma_f32_16x16x32_bf16 v[116:119], a[48:51], v[36:39], 0 // 000000009C20: D3B50074 0A024930
	v_add_u32_e32 v1, s68, v1                                  // 000000009C28: 68020244
	v_add_u32_e32 v2, s68, v2                                  // 000000009C2C: 68040444
	v_add_u32_e32 v3, s68, v3                                  // 000000009C30: 68060644
	v_add_u32_e32 v4, s98, v4                                  // 000000009C34: 68080862
	v_add_u32_e32 v11, s69, v11                                // 000000009C38: 68161645
	v_mfma_f32_16x16x32_bf16 v[116:119], a[52:55], v[40:43], v[116:119]// 000000009C3C: D3B50074 0DD25134
	ds_read_b128 a[24:27], v17 offset:24576                    // 000000009C44: DBFE6000 18000011
	ds_read_b128 a[28:31], v17 offset:25600                    // 000000009C4C: DBFE6400 1C000011
	s_waitcnt lgkmcnt(14)                                      // 000000009C54: BF8CCE7F
	v_mfma_f32_16x16x32_bf16 v[116:119], a[56:59], v[44:47], v[116:119]// 000000009C58: D3B50074 0DD25938
	v_mul_f32_e32 v110, s47, v110                              // 000000009C60: 0ADCDC2F
	v_mul_f32_e32 v111, s47, v111                              // 000000009C64: 0ADEDE2F
	s_cmp_ge_u32 s59, s73                                      // 000000009C68: BF09493B
	s_cselect_b32 s66, s67, s66                                // 000000009C6C: 85424243
	v_mfma_f32_16x16x32_bf16 v[116:119], a[60:63], v[48:51], v[116:119]// 000000009C70: D3B50074 0DD2613C
	ds_read_b128 a[32:35], v17 offset:26624                    // 000000009C78: DBFE6800 20000011
	ds_read_b128 a[36:39], v17 offset:27648                    // 000000009C80: DBFE6C00 24000011
	v_mfma_f32_16x16x32_bf16 v[116:119], v[248:251], v[52:55], v[116:119]// 000000009C88: D3B50074 05D269F8
	s_addk_i32 s59, 0x10                                       // 000000009C90: B73B0010
	v_mul_f32_e32 v112, s47, v112                              // 000000009C94: 0AE0E02F
	v_mul_f32_e32 v113, s47, v113                              // 000000009C98: 0AE2E22F
	s_cmp_lt_i32 s59, s58                                      // 000000009C9C: BF043A3B
	v_mfma_f32_16x16x32_bf16 v[116:119], v[252:255], v[56:59], v[116:119]// 000000009CA0: D3B50074 05D271FC
	ds_read_b128 a[40:43], v17 offset:28672                    // 000000009CA8: DBFE7000 28000011
	ds_read_b128 a[44:47], v17 offset:29696                    // 000000009CB0: DBFE7400 2C000011
	s_cbranch_scc0 label_0ED1                                  // 000000009CB8: BF84F793
	s_branch label_0ED4                                        // 000000009CBC: BF82F795

0000000000009cc0 <label_174E>:
	v_lshlrev_b32_e32 v24, 1, v0                               // 000000009CC0: 24300081
	s_mul_i32 s60, s46, 0xcc0                                  // 000000009CC4: 923CFF2E 00000CC0
	v_add_u32_e32 v24, s60, v24                                // 000000009CCC: 6830303C
	v_lshlrev_b32_e32 v24, 2, v24                              // 000000009CD0: 24303082
	v_lshlrev_b32_e32 v25, 1, v0                               // 000000009CD4: 24320081
	v_lshrrev_b32_e32 v32, 5, v0                               // 000000009CD8: 20400085
	v_mul_i32_i24_e32 v32, 8, v32                              // 000000009CDC: 0C404088
	v_add_u32_e32 v25, v32, v25                                // 000000009CE0: 68323320
	s_mul_i32 s60, s46, 0x6c0                                  // 000000009CE4: 923CFF2E 000006C0
	v_add_u32_e32 v25, s60, v25                                // 000000009CEC: 6832323C
	v_lshlrev_b32_e32 v25, 2, v25                              // 000000009CF0: 24323282
	v_mul_f32_e32 v114, s47, v114                              // 000000009CF4: 0AE4E42F
	v_mul_f32_e32 v115, s47, v115                              // 000000009CF8: 0AE6E62F
	v_mul_f32_e32 v116, s47, v116                              // 000000009CFC: 0AE8E82F
	v_mul_f32_e32 v117, s47, v117                              // 000000009D00: 0AEAEA2F
	v_mul_f32_e32 v118, s47, v118                              // 000000009D04: 0AECEC2F
	v_mul_f32_e32 v119, s47, v119                              // 000000009D08: 0AEEEE2F
	v_cvt_pk_bf16_f32 v108, v108, v109                         // 000000009D0C: D268006C 0002DB6C
	v_cvt_pk_bf16_f32 v109, v110, v111                         // 000000009D14: D268006D 0002DF6E
	v_cvt_pk_bf16_f32 v110, v112, v113                         // 000000009D1C: D268006E 0002E370
	v_cvt_pk_bf16_f32 v111, v114, v115                         // 000000009D24: D268006F 0002E772
	v_cvt_pk_bf16_f32 v112, v116, v117                         // 000000009D2C: D2680070 0002EB74
	v_cvt_pk_bf16_f32 v113, v118, v119                         // 000000009D34: D2680071 0002EF76
	v_add_u32_e32 v7, s66, v7                                  // 000000009D3C: 680E0E42
	v_add_u32_e32 v8, s66, v8                                  // 000000009D40: 68101042
	v_add_u32_e32 v9, s66, v9                                  // 000000009D44: 68121242
	buffer_atomic_pk_add_bf16 v108, v7, s[32:35], 0 offen      // 000000009D48: E1481000 80086C07
	buffer_atomic_pk_add_bf16 v109, v7, s[32:35], 0 offen offset:768// 000000009D50: E1481300 80086D07
	buffer_atomic_pk_add_bf16 v110, v8, s[32:35], 0 offen      // 000000009D58: E1481000 80086E08
	buffer_atomic_pk_add_bf16 v111, v8, s[32:35], 0 offen offset:768// 000000009D60: E1481300 80086F08
	buffer_atomic_pk_add_bf16 v112, v9, s[32:35], 0 offen      // 000000009D68: E1481000 80087009
	buffer_atomic_pk_add_bf16 v113, v9, s[32:35], 0 offen offset:768// 000000009D70: E1481300 80087109
	v_lshrrev_b32_e32 v32, 3, v0                               // 000000009D78: 20400083
	v_mul_i32_i24_e32 v22, 2, v32                              // 000000009D7C: 0C2C4082
	v_and_b32_e32 v32, 7, v0                                   // 000000009D80: 26400087
	v_mul_i32_i24_e32 v33, 0x88, v32                           // 000000009D84: 0C4240FF 00000088
	v_add_u32_e32 v22, v33, v22                                // 000000009D8C: 682C2D21
	s_mul_i32 s60, s46, 0xcc0                                  // 000000009D90: 923CFF2E 00000CC0
	v_add_u32_e32 v22, s60, v22                                // 000000009D98: 682C2C3C
	v_lshlrev_b32_e32 v22, 2, v22                              // 000000009D9C: 242C2C82
	v_lshrrev_b32_e32 v32, 3, v0                               // 000000009DA0: 20400083
	v_mul_i32_i24_e32 v23, 2, v32                              // 000000009DA4: 0C2E4082
	v_and_b32_e32 v32, 7, v0                                   // 000000009DA8: 26400087
	v_mul_i32_i24_e32 v33, 0x48, v32                           // 000000009DAC: 0C4240FF 00000048
	v_add_u32_e32 v23, v33, v23                                // 000000009DB4: 682E2F21
	s_mul_i32 s60, s46, 0x6c0                                  // 000000009DB8: 923CFF2E 000006C0
	v_add_u32_e32 v23, s60, v23                                // 000000009DC0: 682E2E3C
	v_lshlrev_b32_e32 v23, 2, v23                              // 000000009DC4: 242E2E82
	s_waitcnt vmcnt(0) expcnt(0) lgkmcnt(0)                    // 000000009DC8: BF8C0000
	s_barrier                                                  // 000000009DCC: BF8A0000
	v_mov_b32_e32 v34, v128                                    // 000000009DD0: 7E440380
	v_mov_b32_e32 v35, v129                                    // 000000009DD4: 7E460381
	v_cvt_pk_bf16_f32 v128, v34, v35                           // 000000009DD8: D2680080 00024722
	v_mov_b32_e32 v34, v130                                    // 000000009DE0: 7E440382
	v_mov_b32_e32 v35, v131                                    // 000000009DE4: 7E460383
	v_cvt_pk_bf16_f32 v129, v34, v35                           // 000000009DE8: D2680081 00024722
	v_mov_b32_e32 v34, v132                                    // 000000009DF0: 7E440384
	v_mov_b32_e32 v35, v133                                    // 000000009DF4: 7E460385
	v_cvt_pk_bf16_f32 v130, v34, v35                           // 000000009DF8: D2680082 00024722
	v_mov_b32_e32 v34, v134                                    // 000000009E00: 7E440386
	v_mov_b32_e32 v35, v135                                    // 000000009E04: 7E460387
	v_cvt_pk_bf16_f32 v131, v34, v35                           // 000000009E08: D2680083 00024722
	v_mov_b32_e32 v34, v136                                    // 000000009E10: 7E440388
	v_mov_b32_e32 v35, v137                                    // 000000009E14: 7E460389
	v_cvt_pk_bf16_f32 v132, v34, v35                           // 000000009E18: D2680084 00024722
	v_mov_b32_e32 v34, v138                                    // 000000009E20: 7E44038A
	v_mov_b32_e32 v35, v139                                    // 000000009E24: 7E46038B
	v_cvt_pk_bf16_f32 v133, v34, v35                           // 000000009E28: D2680085 00024722
	v_mov_b32_e32 v34, v140                                    // 000000009E30: 7E44038C
	v_mov_b32_e32 v35, v141                                    // 000000009E34: 7E46038D
	v_cvt_pk_bf16_f32 v134, v34, v35                           // 000000009E38: D2680086 00024722
	v_mov_b32_e32 v34, v142                                    // 000000009E40: 7E44038E
	v_mov_b32_e32 v35, v143                                    // 000000009E44: 7E46038F
	v_cvt_pk_bf16_f32 v135, v34, v35                           // 000000009E48: D2680087 00024722
	v_mov_b32_e32 v34, v144                                    // 000000009E50: 7E440390
	v_mov_b32_e32 v35, v145                                    // 000000009E54: 7E460391
	v_cvt_pk_bf16_f32 v136, v34, v35                           // 000000009E58: D2680088 00024722
	v_mov_b32_e32 v34, v146                                    // 000000009E60: 7E440392
	v_mov_b32_e32 v35, v147                                    // 000000009E64: 7E460393
	v_cvt_pk_bf16_f32 v137, v34, v35                           // 000000009E68: D2680089 00024722
	v_mov_b32_e32 v34, v148                                    // 000000009E70: 7E440394
	v_mov_b32_e32 v35, v149                                    // 000000009E74: 7E460395
	v_cvt_pk_bf16_f32 v138, v34, v35                           // 000000009E78: D268008A 00024722
	v_mov_b32_e32 v34, v150                                    // 000000009E80: 7E440396
	v_mov_b32_e32 v35, v151                                    // 000000009E84: 7E460397
	v_cvt_pk_bf16_f32 v139, v34, v35                           // 000000009E88: D268008B 00024722
	v_mov_b32_e32 v34, v152                                    // 000000009E90: 7E440398
	v_mov_b32_e32 v35, v153                                    // 000000009E94: 7E460399
	v_cvt_pk_bf16_f32 v140, v34, v35                           // 000000009E98: D268008C 00024722
	v_mov_b32_e32 v34, v154                                    // 000000009EA0: 7E44039A
	v_mov_b32_e32 v35, v155                                    // 000000009EA4: 7E46039B
	v_cvt_pk_bf16_f32 v141, v34, v35                           // 000000009EA8: D268008D 00024722
	v_mov_b32_e32 v34, v156                                    // 000000009EB0: 7E44039C
	v_mov_b32_e32 v35, v157                                    // 000000009EB4: 7E46039D
	v_cvt_pk_bf16_f32 v142, v34, v35                           // 000000009EB8: D268008E 00024722
	v_mov_b32_e32 v34, v158                                    // 000000009EC0: 7E44039E
	v_mov_b32_e32 v35, v159                                    // 000000009EC4: 7E46039F
	v_cvt_pk_bf16_f32 v143, v34, v35                           // 000000009EC8: D268008F 00024722
	v_mov_b32_e32 v34, v160                                    // 000000009ED0: 7E4403A0
	v_mov_b32_e32 v35, v161                                    // 000000009ED4: 7E4603A1
	v_cvt_pk_bf16_f32 v144, v34, v35                           // 000000009ED8: D2680090 00024722
	v_mov_b32_e32 v34, v162                                    // 000000009EE0: 7E4403A2
	v_mov_b32_e32 v35, v163                                    // 000000009EE4: 7E4603A3
	v_cvt_pk_bf16_f32 v145, v34, v35                           // 000000009EE8: D2680091 00024722
	v_mov_b32_e32 v34, v164                                    // 000000009EF0: 7E4403A4
	v_mov_b32_e32 v35, v165                                    // 000000009EF4: 7E4603A5
	v_cvt_pk_bf16_f32 v146, v34, v35                           // 000000009EF8: D2680092 00024722
	v_mov_b32_e32 v34, v166                                    // 000000009F00: 7E4403A6
	v_mov_b32_e32 v35, v167                                    // 000000009F04: 7E4603A7
	v_cvt_pk_bf16_f32 v147, v34, v35                           // 000000009F08: D2680093 00024722
	v_mov_b32_e32 v34, v168                                    // 000000009F10: 7E4403A8
	v_mov_b32_e32 v35, v169                                    // 000000009F14: 7E4603A9
	v_cvt_pk_bf16_f32 v148, v34, v35                           // 000000009F18: D2680094 00024722
	v_mov_b32_e32 v34, v170                                    // 000000009F20: 7E4403AA
	v_mov_b32_e32 v35, v171                                    // 000000009F24: 7E4603AB
	v_cvt_pk_bf16_f32 v149, v34, v35                           // 000000009F28: D2680095 00024722
	v_mov_b32_e32 v34, v172                                    // 000000009F30: 7E4403AC
	v_mov_b32_e32 v35, v173                                    // 000000009F34: 7E4603AD
	v_cvt_pk_bf16_f32 v150, v34, v35                           // 000000009F38: D2680096 00024722
	v_mov_b32_e32 v34, v174                                    // 000000009F40: 7E4403AE
	v_mov_b32_e32 v35, v175                                    // 000000009F44: 7E4603AF
	v_cvt_pk_bf16_f32 v151, v34, v35                           // 000000009F48: D2680097 00024722
	v_mov_b32_e32 v34, v176                                    // 000000009F50: 7E4403B0
	v_mov_b32_e32 v35, v177                                    // 000000009F54: 7E4603B1
	v_cvt_pk_bf16_f32 v152, v34, v35                           // 000000009F58: D2680098 00024722
	v_mov_b32_e32 v34, v178                                    // 000000009F60: 7E4403B2
	v_mov_b32_e32 v35, v179                                    // 000000009F64: 7E4603B3
	v_cvt_pk_bf16_f32 v153, v34, v35                           // 000000009F68: D2680099 00024722
	v_mov_b32_e32 v34, v180                                    // 000000009F70: 7E4403B4
	v_mov_b32_e32 v35, v181                                    // 000000009F74: 7E4603B5
	v_cvt_pk_bf16_f32 v154, v34, v35                           // 000000009F78: D268009A 00024722
	v_mov_b32_e32 v34, v182                                    // 000000009F80: 7E4403B6
	v_mov_b32_e32 v35, v183                                    // 000000009F84: 7E4603B7
	v_cvt_pk_bf16_f32 v155, v34, v35                           // 000000009F88: D268009B 00024722
	v_mov_b32_e32 v34, v184                                    // 000000009F90: 7E4403B8
	v_mov_b32_e32 v35, v185                                    // 000000009F94: 7E4603B9
	v_cvt_pk_bf16_f32 v156, v34, v35                           // 000000009F98: D268009C 00024722
	v_mov_b32_e32 v34, v186                                    // 000000009FA0: 7E4403BA
	v_mov_b32_e32 v35, v187                                    // 000000009FA4: 7E4603BB
	v_cvt_pk_bf16_f32 v157, v34, v35                           // 000000009FA8: D268009D 00024722
	v_mov_b32_e32 v34, v188                                    // 000000009FB0: 7E4403BC
	v_mov_b32_e32 v35, v189                                    // 000000009FB4: 7E4603BD
	v_cvt_pk_bf16_f32 v158, v34, v35                           // 000000009FB8: D268009E 00024722
	v_mov_b32_e32 v34, v190                                    // 000000009FC0: 7E4403BE
	v_mov_b32_e32 v35, v191                                    // 000000009FC4: 7E4603BF
	v_cvt_pk_bf16_f32 v159, v34, v35                           // 000000009FC8: D268009F 00024722
	ds_write_b64 v24, v[128:129]                               // 000000009FD0: D89A0000 00008018
	ds_write_b64 v24, v[130:131] offset:544                    // 000000009FD8: D89A0220 00008218
	ds_write_b64 v24, v[132:133] offset:1088                   // 000000009FE0: D89A0440 00008418
	ds_write_b64 v24, v[134:135] offset:1632                   // 000000009FE8: D89A0660 00008618
	ds_write_b64 v24, v[136:137] offset:2176                   // 000000009FF0: D89A0880 00008818
	ds_write_b64 v24, v[138:139] offset:2720                   // 000000009FF8: D89A0AA0 00008A18
	ds_write_b64 v24, v[140:141] offset:3264                   // 00000000A000: D89A0CC0 00008C18
	ds_write_b64 v24, v[142:143] offset:3808                   // 00000000A008: D89A0EE0 00008E18
	ds_write_b64 v24, v[144:145] offset:4352                   // 00000000A010: D89A1100 00009018
	ds_write_b64 v24, v[146:147] offset:4896                   // 00000000A018: D89A1320 00009218
	ds_write_b64 v24, v[148:149] offset:5440                   // 00000000A020: D89A1540 00009418
	ds_write_b64 v24, v[150:151] offset:5984                   // 00000000A028: D89A1760 00009618
	ds_write_b64 v24, v[152:153] offset:6528                   // 00000000A030: D89A1980 00009818
	ds_write_b64 v24, v[154:155] offset:7072                   // 00000000A038: D89A1BA0 00009A18
	ds_write_b64 v24, v[156:157] offset:7616                   // 00000000A040: D89A1DC0 00009C18
	ds_write_b64 v24, v[158:159] offset:8160                   // 00000000A048: D89A1FE0 00009E18
	s_waitcnt lgkmcnt(0)                                       // 00000000A050: BF8CC07F
	s_barrier                                                  // 00000000A054: BF8A0000
	ds_read_b64 v[128:129], v22                                // 00000000A058: D8EC0000 80000016
	ds_read_b64 v[130:131], v22 offset:256                     // 00000000A060: D8EC0100 82000016
	ds_read_b64 v[132:133], v22 offset:4352                    // 00000000A068: D8EC1100 84000016
	ds_read_b64 v[134:135], v22 offset:4608                    // 00000000A070: D8EC1200 86000016
	ds_read_b64 v[136:137], v22 offset:64                      // 00000000A078: D8EC0040 88000016
	ds_read_b64 v[138:139], v22 offset:320                     // 00000000A080: D8EC0140 8A000016
	ds_read_b64 v[140:141], v22 offset:4416                    // 00000000A088: D8EC1140 8C000016
	ds_read_b64 v[142:143], v22 offset:4672                    // 00000000A090: D8EC1240 8E000016
	ds_read_b64 v[144:145], v22 offset:128                     // 00000000A098: D8EC0080 90000016
	ds_read_b64 v[146:147], v22 offset:384                     // 00000000A0A0: D8EC0180 92000016
	ds_read_b64 v[148:149], v22 offset:4480                    // 00000000A0A8: D8EC1180 94000016
	ds_read_b64 v[150:151], v22 offset:4736                    // 00000000A0B0: D8EC1280 96000016
	ds_read_b64 v[152:153], v22 offset:192                     // 00000000A0B8: D8EC00C0 98000016
	ds_read_b64 v[154:155], v22 offset:448                     // 00000000A0C0: D8EC01C0 9A000016
	ds_read_b64 v[156:157], v22 offset:4544                    // 00000000A0C8: D8EC11C0 9C000016
	ds_read_b64 v[158:159], v22 offset:4800                    // 00000000A0D0: D8EC12C0 9E000016
	s_waitcnt lgkmcnt(0)                                       // 00000000A0D8: BF8CC07F
	s_mov_b32 s70, s53                                         // 00000000A0DC: BEC60035
	buffer_store_dwordx4 v[128:131], v6, s[40:43], 0 offen     // 00000000A0E0: E07C1000 800A8006
	buffer_store_dwordx4 v[132:135], v6, s[40:43], 0 offen offset:128// 00000000A0E8: E07C1080 800A8406
	s_mul_i32 s60, 8, s70                                      // 00000000A0F0: 923C4688
	v_add_u32_e32 v6, s60, v6                                  // 00000000A0F4: 680C0C3C
	buffer_store_dwordx4 v[136:139], v6, s[40:43], 0 offen     // 00000000A0F8: E07C1000 800A8806
	buffer_store_dwordx4 v[140:143], v6, s[40:43], 0 offen offset:128// 00000000A100: E07C1080 800A8C06
	s_mul_i32 s60, 8, s70                                      // 00000000A108: 923C4688
	v_add_u32_e32 v6, s60, v6                                  // 00000000A10C: 680C0C3C
	s_mul_i32 s60, 48, s70                                     // 00000000A110: 923C46B0
	v_add_u32_e32 v6, s60, v6                                  // 00000000A114: 680C0C3C
	buffer_store_dwordx4 v[144:147], v6, s[40:43], 0 offen     // 00000000A118: E07C1000 800A9006
	buffer_store_dwordx4 v[148:151], v6, s[40:43], 0 offen offset:128// 00000000A120: E07C1080 800A9406
	s_mul_i32 s60, 8, s70                                      // 00000000A128: 923C4688
	v_add_u32_e32 v6, s60, v6                                  // 00000000A12C: 680C0C3C
	buffer_store_dwordx4 v[152:155], v6, s[40:43], 0 offen     // 00000000A130: E07C1000 800A9806
	buffer_store_dwordx4 v[156:159], v6, s[40:43], 0 offen offset:128// 00000000A138: E07C1080 800A9C06
	s_mul_i32 s60, 8, s70                                      // 00000000A140: 923C4688
	v_add_u32_e32 v6, s60, v6                                  // 00000000A144: 680C0C3C
	s_mul_i32 s60, 48, s70                                     // 00000000A148: 923C46B0
	v_add_u32_e32 v6, s60, v6                                  // 00000000A14C: 680C0C3C
	s_barrier                                                  // 00000000A150: BF8A0000
	s_cmp_ge_i32 2, s72                                        // 00000000A154: BF034882
	s_cbranch_scc1 label_18E6                                  // 00000000A158: BF850071
	v_mov_b32_e32 v34, v192                                    // 00000000A15C: 7E4403C0
	v_mov_b32_e32 v35, v193                                    // 00000000A160: 7E4603C1
	v_cvt_pk_bf16_f32 v160, v34, v35                           // 00000000A164: D26800A0 00024722
	v_mov_b32_e32 v34, v194                                    // 00000000A16C: 7E4403C2
	v_mov_b32_e32 v35, v195                                    // 00000000A170: 7E4603C3
	v_cvt_pk_bf16_f32 v161, v34, v35                           // 00000000A174: D26800A1 00024722
	v_mov_b32_e32 v34, v196                                    // 00000000A17C: 7E4403C4
	v_mov_b32_e32 v35, v197                                    // 00000000A180: 7E4603C5
	v_cvt_pk_bf16_f32 v162, v34, v35                           // 00000000A184: D26800A2 00024722
	v_mov_b32_e32 v34, v198                                    // 00000000A18C: 7E4403C6
	v_mov_b32_e32 v35, v199                                    // 00000000A190: 7E4603C7
	v_cvt_pk_bf16_f32 v163, v34, v35                           // 00000000A194: D26800A3 00024722
	v_mov_b32_e32 v34, v200                                    // 00000000A19C: 7E4403C8
	v_mov_b32_e32 v35, v201                                    // 00000000A1A0: 7E4603C9
	v_cvt_pk_bf16_f32 v164, v34, v35                           // 00000000A1A4: D26800A4 00024722
	v_mov_b32_e32 v34, v202                                    // 00000000A1AC: 7E4403CA
	v_mov_b32_e32 v35, v203                                    // 00000000A1B0: 7E4603CB
	v_cvt_pk_bf16_f32 v165, v34, v35                           // 00000000A1B4: D26800A5 00024722
	v_mov_b32_e32 v34, v204                                    // 00000000A1BC: 7E4403CC
	v_mov_b32_e32 v35, v205                                    // 00000000A1C0: 7E4603CD
	v_cvt_pk_bf16_f32 v166, v34, v35                           // 00000000A1C4: D26800A6 00024722
	v_mov_b32_e32 v34, v206                                    // 00000000A1CC: 7E4403CE
	v_mov_b32_e32 v35, v207                                    // 00000000A1D0: 7E4603CF
	v_cvt_pk_bf16_f32 v167, v34, v35                           // 00000000A1D4: D26800A7 00024722
	v_mov_b32_e32 v34, v208                                    // 00000000A1DC: 7E4403D0
	v_mov_b32_e32 v35, v209                                    // 00000000A1E0: 7E4603D1
	v_cvt_pk_bf16_f32 v168, v34, v35                           // 00000000A1E4: D26800A8 00024722
	v_mov_b32_e32 v34, v210                                    // 00000000A1EC: 7E4403D2
	v_mov_b32_e32 v35, v211                                    // 00000000A1F0: 7E4603D3
	v_cvt_pk_bf16_f32 v169, v34, v35                           // 00000000A1F4: D26800A9 00024722
	v_mov_b32_e32 v34, v212                                    // 00000000A1FC: 7E4403D4
	v_mov_b32_e32 v35, v213                                    // 00000000A200: 7E4603D5
	v_cvt_pk_bf16_f32 v170, v34, v35                           // 00000000A204: D26800AA 00024722
	v_mov_b32_e32 v34, v214                                    // 00000000A20C: 7E4403D6
	v_mov_b32_e32 v35, v215                                    // 00000000A210: 7E4603D7
	v_cvt_pk_bf16_f32 v171, v34, v35                           // 00000000A214: D26800AB 00024722
	v_mov_b32_e32 v34, v216                                    // 00000000A21C: 7E4403D8
	v_mov_b32_e32 v35, v217                                    // 00000000A220: 7E4603D9
	v_cvt_pk_bf16_f32 v172, v34, v35                           // 00000000A224: D26800AC 00024722
	v_mov_b32_e32 v34, v218                                    // 00000000A22C: 7E4403DA
	v_mov_b32_e32 v35, v219                                    // 00000000A230: 7E4603DB
	v_cvt_pk_bf16_f32 v173, v34, v35                           // 00000000A234: D26800AD 00024722
	v_mov_b32_e32 v34, v220                                    // 00000000A23C: 7E4403DC
	v_mov_b32_e32 v35, v221                                    // 00000000A240: 7E4603DD
	v_cvt_pk_bf16_f32 v174, v34, v35                           // 00000000A244: D26800AE 00024722
	v_mov_b32_e32 v34, v222                                    // 00000000A24C: 7E4403DE
	v_mov_b32_e32 v35, v223                                    // 00000000A250: 7E4603DF
	v_cvt_pk_bf16_f32 v175, v34, v35                           // 00000000A254: D26800AF 00024722
	ds_write_b64 v25, v[160:161] offset:52224                  // 00000000A25C: D89ACC00 0000A019
	ds_write_b64 v25, v[162:163] offset:52800                  // 00000000A264: D89ACE40 0000A219
	ds_write_b64 v25, v[164:165] offset:53376                  // 00000000A26C: D89AD080 0000A419
	ds_write_b64 v25, v[166:167] offset:53952                  // 00000000A274: D89AD2C0 0000A619
	ds_write_b64 v25, v[168:169] offset:54528                  // 00000000A27C: D89AD500 0000A819
	ds_write_b64 v25, v[170:171] offset:55104                  // 00000000A284: D89AD740 0000AA19
	ds_write_b64 v25, v[172:173] offset:55680                  // 00000000A28C: D89AD980 0000AC19
	ds_write_b64 v25, v[174:175] offset:56256                  // 00000000A294: D89ADBC0 0000AE19
	s_waitcnt lgkmcnt(0)                                       // 00000000A29C: BF8CC07F
	s_barrier                                                  // 00000000A2A0: BF8A0000
	ds_read_b64 v[160:161], v23 offset:52224                   // 00000000A2A4: D8ECCC00 A0000017
	ds_read_b64 v[162:163], v23 offset:52352                   // 00000000A2AC: D8ECCC80 A2000017
	ds_read_b64 v[164:165], v23 offset:54528                   // 00000000A2B4: D8ECD500 A4000017
	ds_read_b64 v[166:167], v23 offset:54656                   // 00000000A2BC: D8ECD580 A6000017
	ds_read_b64 v[168:169], v23 offset:52288                   // 00000000A2C4: D8ECCC40 A8000017
	ds_read_b64 v[170:171], v23 offset:52416                   // 00000000A2CC: D8ECCCC0 AA000017
	ds_read_b64 v[172:173], v23 offset:54592                   // 00000000A2D4: D8ECD540 AC000017
	ds_read_b64 v[174:175], v23 offset:54720                   // 00000000A2DC: D8ECD5C0 AE000017
	s_waitcnt lgkmcnt(0)                                       // 00000000A2E4: BF8CC07F
	s_mov_b32 s70, s53                                         // 00000000A2E8: BEC60035
	buffer_store_dwordx4 v[160:163], v6, s[40:43], 0 offen     // 00000000A2EC: E07C1000 800AA006
	buffer_store_dwordx4 v[164:167], v6, s[40:43], 0 offen offset:128// 00000000A2F4: E07C1080 800AA406
	s_mul_i32 s60, 8, s70                                      // 00000000A2FC: 923C4688
	v_add_u32_e32 v6, s60, v6                                  // 00000000A300: 680C0C3C
	buffer_store_dwordx4 v[168:171], v6, s[40:43], 0 offen     // 00000000A304: E07C1000 800AA806
	buffer_store_dwordx4 v[172:175], v6, s[40:43], 0 offen offset:128// 00000000A30C: E07C1080 800AAC06
	s_mul_i32 s60, 8, s70                                      // 00000000A314: 923C4688
	v_add_u32_e32 v6, s60, v6                                  // 00000000A318: 680C0C3C
	s_barrier                                                  // 00000000A31C: BF8A0000

000000000000a320 <label_18E6>:
	v_accvgpr_read_b32 v34, a112                               // 00000000A320: D3D84022 18000170
	v_accvgpr_read_b32 v35, a113                               // 00000000A328: D3D84023 18000171
	v_mul_f32_e32 v34, s47, v34                                // 00000000A330: 0A44442F
	v_mul_f32_e32 v35, s47, v35                                // 00000000A334: 0A46462F
	v_cvt_pk_bf16_f32 v128, v34, v35                           // 00000000A338: D2680080 00024722
	v_accvgpr_read_b32 v34, a114                               // 00000000A340: D3D84022 18000172
	v_accvgpr_read_b32 v35, a115                               // 00000000A348: D3D84023 18000173
	v_mul_f32_e32 v34, s47, v34                                // 00000000A350: 0A44442F
	v_mul_f32_e32 v35, s47, v35                                // 00000000A354: 0A46462F
	v_cvt_pk_bf16_f32 v129, v34, v35                           // 00000000A358: D2680081 00024722
	v_accvgpr_read_b32 v34, a116                               // 00000000A360: D3D84022 18000174
	v_accvgpr_read_b32 v35, a117                               // 00000000A368: D3D84023 18000175
	v_mul_f32_e32 v34, s47, v34                                // 00000000A370: 0A44442F
	v_mul_f32_e32 v35, s47, v35                                // 00000000A374: 0A46462F
	v_cvt_pk_bf16_f32 v130, v34, v35                           // 00000000A378: D2680082 00024722
	v_accvgpr_read_b32 v34, a118                               // 00000000A380: D3D84022 18000176
	v_accvgpr_read_b32 v35, a119                               // 00000000A388: D3D84023 18000177
	v_mul_f32_e32 v34, s47, v34                                // 00000000A390: 0A44442F
	v_mul_f32_e32 v35, s47, v35                                // 00000000A394: 0A46462F
	v_cvt_pk_bf16_f32 v131, v34, v35                           // 00000000A398: D2680083 00024722
	v_accvgpr_read_b32 v34, a120                               // 00000000A3A0: D3D84022 18000178
	v_accvgpr_read_b32 v35, a121                               // 00000000A3A8: D3D84023 18000179
	v_mul_f32_e32 v34, s47, v34                                // 00000000A3B0: 0A44442F
	v_mul_f32_e32 v35, s47, v35                                // 00000000A3B4: 0A46462F
	v_cvt_pk_bf16_f32 v132, v34, v35                           // 00000000A3B8: D2680084 00024722
	v_accvgpr_read_b32 v34, a122                               // 00000000A3C0: D3D84022 1800017A
	v_accvgpr_read_b32 v35, a123                               // 00000000A3C8: D3D84023 1800017B
	v_mul_f32_e32 v34, s47, v34                                // 00000000A3D0: 0A44442F
	v_mul_f32_e32 v35, s47, v35                                // 00000000A3D4: 0A46462F
	v_cvt_pk_bf16_f32 v133, v34, v35                           // 00000000A3D8: D2680085 00024722
	v_accvgpr_read_b32 v34, a124                               // 00000000A3E0: D3D84022 1800017C
	v_accvgpr_read_b32 v35, a125                               // 00000000A3E8: D3D84023 1800017D
	v_mul_f32_e32 v34, s47, v34                                // 00000000A3F0: 0A44442F
	v_mul_f32_e32 v35, s47, v35                                // 00000000A3F4: 0A46462F
	v_cvt_pk_bf16_f32 v134, v34, v35                           // 00000000A3F8: D2680086 00024722
	v_accvgpr_read_b32 v34, a126                               // 00000000A400: D3D84022 1800017E
	v_accvgpr_read_b32 v35, a127                               // 00000000A408: D3D84023 1800017F
	v_mul_f32_e32 v34, s47, v34                                // 00000000A410: 0A44442F
	v_mul_f32_e32 v35, s47, v35                                // 00000000A414: 0A46462F
	v_cvt_pk_bf16_f32 v135, v34, v35                           // 00000000A418: D2680087 00024722
	v_accvgpr_read_b32 v34, a128                               // 00000000A420: D3D84022 18000180
	v_accvgpr_read_b32 v35, a129                               // 00000000A428: D3D84023 18000181
	v_mul_f32_e32 v34, s47, v34                                // 00000000A430: 0A44442F
	v_mul_f32_e32 v35, s47, v35                                // 00000000A434: 0A46462F
	v_cvt_pk_bf16_f32 v136, v34, v35                           // 00000000A438: D2680088 00024722
	v_accvgpr_read_b32 v34, a130                               // 00000000A440: D3D84022 18000182
	v_accvgpr_read_b32 v35, a131                               // 00000000A448: D3D84023 18000183
	v_mul_f32_e32 v34, s47, v34                                // 00000000A450: 0A44442F
	v_mul_f32_e32 v35, s47, v35                                // 00000000A454: 0A46462F
	v_cvt_pk_bf16_f32 v137, v34, v35                           // 00000000A458: D2680089 00024722
	v_accvgpr_read_b32 v34, a132                               // 00000000A460: D3D84022 18000184
	v_accvgpr_read_b32 v35, a133                               // 00000000A468: D3D84023 18000185
	v_mul_f32_e32 v34, s47, v34                                // 00000000A470: 0A44442F
	v_mul_f32_e32 v35, s47, v35                                // 00000000A474: 0A46462F
	v_cvt_pk_bf16_f32 v138, v34, v35                           // 00000000A478: D268008A 00024722
	v_accvgpr_read_b32 v34, a134                               // 00000000A480: D3D84022 18000186
	v_accvgpr_read_b32 v35, a135                               // 00000000A488: D3D84023 18000187
	v_mul_f32_e32 v34, s47, v34                                // 00000000A490: 0A44442F
	v_mul_f32_e32 v35, s47, v35                                // 00000000A494: 0A46462F
	v_cvt_pk_bf16_f32 v139, v34, v35                           // 00000000A498: D268008B 00024722
	v_accvgpr_read_b32 v34, a136                               // 00000000A4A0: D3D84022 18000188
	v_accvgpr_read_b32 v35, a137                               // 00000000A4A8: D3D84023 18000189
	v_mul_f32_e32 v34, s47, v34                                // 00000000A4B0: 0A44442F
	v_mul_f32_e32 v35, s47, v35                                // 00000000A4B4: 0A46462F
	v_cvt_pk_bf16_f32 v140, v34, v35                           // 00000000A4B8: D268008C 00024722
	v_accvgpr_read_b32 v34, a138                               // 00000000A4C0: D3D84022 1800018A
	v_accvgpr_read_b32 v35, a139                               // 00000000A4C8: D3D84023 1800018B
	v_mul_f32_e32 v34, s47, v34                                // 00000000A4D0: 0A44442F
	v_mul_f32_e32 v35, s47, v35                                // 00000000A4D4: 0A46462F
	v_cvt_pk_bf16_f32 v141, v34, v35                           // 00000000A4D8: D268008D 00024722
	v_accvgpr_read_b32 v34, a140                               // 00000000A4E0: D3D84022 1800018C
	v_accvgpr_read_b32 v35, a141                               // 00000000A4E8: D3D84023 1800018D
	v_mul_f32_e32 v34, s47, v34                                // 00000000A4F0: 0A44442F
	v_mul_f32_e32 v35, s47, v35                                // 00000000A4F4: 0A46462F
	v_cvt_pk_bf16_f32 v142, v34, v35                           // 00000000A4F8: D268008E 00024722
	v_accvgpr_read_b32 v34, a142                               // 00000000A500: D3D84022 1800018E
	v_accvgpr_read_b32 v35, a143                               // 00000000A508: D3D84023 1800018F
	v_mul_f32_e32 v34, s47, v34                                // 00000000A510: 0A44442F
	v_mul_f32_e32 v35, s47, v35                                // 00000000A514: 0A46462F
	v_cvt_pk_bf16_f32 v143, v34, v35                           // 00000000A518: D268008F 00024722
	v_accvgpr_read_b32 v34, a144                               // 00000000A520: D3D84022 18000190
	v_accvgpr_read_b32 v35, a145                               // 00000000A528: D3D84023 18000191
	v_mul_f32_e32 v34, s47, v34                                // 00000000A530: 0A44442F
	v_mul_f32_e32 v35, s47, v35                                // 00000000A534: 0A46462F
	v_cvt_pk_bf16_f32 v144, v34, v35                           // 00000000A538: D2680090 00024722
	v_accvgpr_read_b32 v34, a146                               // 00000000A540: D3D84022 18000192
	v_accvgpr_read_b32 v35, a147                               // 00000000A548: D3D84023 18000193
	v_mul_f32_e32 v34, s47, v34                                // 00000000A550: 0A44442F
	v_mul_f32_e32 v35, s47, v35                                // 00000000A554: 0A46462F
	v_cvt_pk_bf16_f32 v145, v34, v35                           // 00000000A558: D2680091 00024722
	v_accvgpr_read_b32 v34, a148                               // 00000000A560: D3D84022 18000194
	v_accvgpr_read_b32 v35, a149                               // 00000000A568: D3D84023 18000195
	v_mul_f32_e32 v34, s47, v34                                // 00000000A570: 0A44442F
	v_mul_f32_e32 v35, s47, v35                                // 00000000A574: 0A46462F
	v_cvt_pk_bf16_f32 v146, v34, v35                           // 00000000A578: D2680092 00024722
	v_accvgpr_read_b32 v34, a150                               // 00000000A580: D3D84022 18000196
	v_accvgpr_read_b32 v35, a151                               // 00000000A588: D3D84023 18000197
	v_mul_f32_e32 v34, s47, v34                                // 00000000A590: 0A44442F
	v_mul_f32_e32 v35, s47, v35                                // 00000000A594: 0A46462F
	v_cvt_pk_bf16_f32 v147, v34, v35                           // 00000000A598: D2680093 00024722
	v_accvgpr_read_b32 v34, a152                               // 00000000A5A0: D3D84022 18000198
	v_accvgpr_read_b32 v35, a153                               // 00000000A5A8: D3D84023 18000199
	v_mul_f32_e32 v34, s47, v34                                // 00000000A5B0: 0A44442F
	v_mul_f32_e32 v35, s47, v35                                // 00000000A5B4: 0A46462F
	v_cvt_pk_bf16_f32 v148, v34, v35                           // 00000000A5B8: D2680094 00024722
	v_accvgpr_read_b32 v34, a154                               // 00000000A5C0: D3D84022 1800019A
	v_accvgpr_read_b32 v35, a155                               // 00000000A5C8: D3D84023 1800019B
	v_mul_f32_e32 v34, s47, v34                                // 00000000A5D0: 0A44442F
	v_mul_f32_e32 v35, s47, v35                                // 00000000A5D4: 0A46462F
	v_cvt_pk_bf16_f32 v149, v34, v35                           // 00000000A5D8: D2680095 00024722
	v_accvgpr_read_b32 v34, a156                               // 00000000A5E0: D3D84022 1800019C
	v_accvgpr_read_b32 v35, a157                               // 00000000A5E8: D3D84023 1800019D
	v_mul_f32_e32 v34, s47, v34                                // 00000000A5F0: 0A44442F
	v_mul_f32_e32 v35, s47, v35                                // 00000000A5F4: 0A46462F
	v_cvt_pk_bf16_f32 v150, v34, v35                           // 00000000A5F8: D2680096 00024722
	v_accvgpr_read_b32 v34, a158                               // 00000000A600: D3D84022 1800019E
	v_accvgpr_read_b32 v35, a159                               // 00000000A608: D3D84023 1800019F
	v_mul_f32_e32 v34, s47, v34                                // 00000000A610: 0A44442F
	v_mul_f32_e32 v35, s47, v35                                // 00000000A614: 0A46462F
	v_cvt_pk_bf16_f32 v151, v34, v35                           // 00000000A618: D2680097 00024722
	v_accvgpr_read_b32 v34, a160                               // 00000000A620: D3D84022 180001A0
	v_accvgpr_read_b32 v35, a161                               // 00000000A628: D3D84023 180001A1
	v_mul_f32_e32 v34, s47, v34                                // 00000000A630: 0A44442F
	v_mul_f32_e32 v35, s47, v35                                // 00000000A634: 0A46462F
	v_cvt_pk_bf16_f32 v152, v34, v35                           // 00000000A638: D2680098 00024722
	v_accvgpr_read_b32 v34, a162                               // 00000000A640: D3D84022 180001A2
	v_accvgpr_read_b32 v35, a163                               // 00000000A648: D3D84023 180001A3
	v_mul_f32_e32 v34, s47, v34                                // 00000000A650: 0A44442F
	v_mul_f32_e32 v35, s47, v35                                // 00000000A654: 0A46462F
	v_cvt_pk_bf16_f32 v153, v34, v35                           // 00000000A658: D2680099 00024722
	v_accvgpr_read_b32 v34, a164                               // 00000000A660: D3D84022 180001A4
	v_accvgpr_read_b32 v35, a165                               // 00000000A668: D3D84023 180001A5
	v_mul_f32_e32 v34, s47, v34                                // 00000000A670: 0A44442F
	v_mul_f32_e32 v35, s47, v35                                // 00000000A674: 0A46462F
	v_cvt_pk_bf16_f32 v154, v34, v35                           // 00000000A678: D268009A 00024722
	v_accvgpr_read_b32 v34, a166                               // 00000000A680: D3D84022 180001A6
	v_accvgpr_read_b32 v35, a167                               // 00000000A688: D3D84023 180001A7
	v_mul_f32_e32 v34, s47, v34                                // 00000000A690: 0A44442F
	v_mul_f32_e32 v35, s47, v35                                // 00000000A694: 0A46462F
	v_cvt_pk_bf16_f32 v155, v34, v35                           // 00000000A698: D268009B 00024722
	v_accvgpr_read_b32 v34, a168                               // 00000000A6A0: D3D84022 180001A8
	v_accvgpr_read_b32 v35, a169                               // 00000000A6A8: D3D84023 180001A9
	v_mul_f32_e32 v34, s47, v34                                // 00000000A6B0: 0A44442F
	v_mul_f32_e32 v35, s47, v35                                // 00000000A6B4: 0A46462F
	v_cvt_pk_bf16_f32 v156, v34, v35                           // 00000000A6B8: D268009C 00024722
	v_accvgpr_read_b32 v34, a170                               // 00000000A6C0: D3D84022 180001AA
	v_accvgpr_read_b32 v35, a171                               // 00000000A6C8: D3D84023 180001AB
	v_mul_f32_e32 v34, s47, v34                                // 00000000A6D0: 0A44442F
	v_mul_f32_e32 v35, s47, v35                                // 00000000A6D4: 0A46462F
	v_cvt_pk_bf16_f32 v157, v34, v35                           // 00000000A6D8: D268009D 00024722
	v_accvgpr_read_b32 v34, a172                               // 00000000A6E0: D3D84022 180001AC
	v_accvgpr_read_b32 v35, a173                               // 00000000A6E8: D3D84023 180001AD
	v_mul_f32_e32 v34, s47, v34                                // 00000000A6F0: 0A44442F
	v_mul_f32_e32 v35, s47, v35                                // 00000000A6F4: 0A46462F
	v_cvt_pk_bf16_f32 v158, v34, v35                           // 00000000A6F8: D268009E 00024722
	v_accvgpr_read_b32 v34, a174                               // 00000000A700: D3D84022 180001AE
	v_accvgpr_read_b32 v35, a175                               // 00000000A708: D3D84023 180001AF
	v_mul_f32_e32 v34, s47, v34                                // 00000000A710: 0A44442F
	v_mul_f32_e32 v35, s47, v35                                // 00000000A714: 0A46462F
	v_cvt_pk_bf16_f32 v159, v34, v35                           // 00000000A718: D268009F 00024722
	v_accvgpr_read_b32 v34, a176                               // 00000000A720: D3D84022 180001B0
	v_accvgpr_read_b32 v35, a177                               // 00000000A728: D3D84023 180001B1
	v_mul_f32_e32 v34, s47, v34                                // 00000000A730: 0A44442F
	v_mul_f32_e32 v35, s47, v35                                // 00000000A734: 0A46462F
	v_cvt_pk_bf16_f32 v160, v34, v35                           // 00000000A738: D26800A0 00024722
	v_accvgpr_read_b32 v34, a178                               // 00000000A740: D3D84022 180001B2
	v_accvgpr_read_b32 v35, a179                               // 00000000A748: D3D84023 180001B3
	v_mul_f32_e32 v34, s47, v34                                // 00000000A750: 0A44442F
	v_mul_f32_e32 v35, s47, v35                                // 00000000A754: 0A46462F
	v_cvt_pk_bf16_f32 v161, v34, v35                           // 00000000A758: D26800A1 00024722
	v_accvgpr_read_b32 v34, a180                               // 00000000A760: D3D84022 180001B4
	v_accvgpr_read_b32 v35, a181                               // 00000000A768: D3D84023 180001B5
	v_mul_f32_e32 v34, s47, v34                                // 00000000A770: 0A44442F
	v_mul_f32_e32 v35, s47, v35                                // 00000000A774: 0A46462F
	v_cvt_pk_bf16_f32 v162, v34, v35                           // 00000000A778: D26800A2 00024722
	v_accvgpr_read_b32 v34, a182                               // 00000000A780: D3D84022 180001B6
	v_accvgpr_read_b32 v35, a183                               // 00000000A788: D3D84023 180001B7
	v_mul_f32_e32 v34, s47, v34                                // 00000000A790: 0A44442F
	v_mul_f32_e32 v35, s47, v35                                // 00000000A794: 0A46462F
	v_cvt_pk_bf16_f32 v163, v34, v35                           // 00000000A798: D26800A3 00024722
	v_accvgpr_read_b32 v34, a184                               // 00000000A7A0: D3D84022 180001B8
	v_accvgpr_read_b32 v35, a185                               // 00000000A7A8: D3D84023 180001B9
	v_mul_f32_e32 v34, s47, v34                                // 00000000A7B0: 0A44442F
	v_mul_f32_e32 v35, s47, v35                                // 00000000A7B4: 0A46462F
	v_cvt_pk_bf16_f32 v164, v34, v35                           // 00000000A7B8: D26800A4 00024722
	v_accvgpr_read_b32 v34, a186                               // 00000000A7C0: D3D84022 180001BA
	v_accvgpr_read_b32 v35, a187                               // 00000000A7C8: D3D84023 180001BB
	v_mul_f32_e32 v34, s47, v34                                // 00000000A7D0: 0A44442F
	v_mul_f32_e32 v35, s47, v35                                // 00000000A7D4: 0A46462F
	v_cvt_pk_bf16_f32 v165, v34, v35                           // 00000000A7D8: D26800A5 00024722
	v_accvgpr_read_b32 v34, a188                               // 00000000A7E0: D3D84022 180001BC
	v_accvgpr_read_b32 v35, a189                               // 00000000A7E8: D3D84023 180001BD
	v_mul_f32_e32 v34, s47, v34                                // 00000000A7F0: 0A44442F
	v_mul_f32_e32 v35, s47, v35                                // 00000000A7F4: 0A46462F
	v_cvt_pk_bf16_f32 v166, v34, v35                           // 00000000A7F8: D26800A6 00024722
	v_accvgpr_read_b32 v34, a190                               // 00000000A800: D3D84022 180001BE
	v_accvgpr_read_b32 v35, a191                               // 00000000A808: D3D84023 180001BF
	v_mul_f32_e32 v34, s47, v34                                // 00000000A810: 0A44442F
	v_mul_f32_e32 v35, s47, v35                                // 00000000A814: 0A46462F
	v_cvt_pk_bf16_f32 v167, v34, v35                           // 00000000A818: D26800A7 00024722
	v_accvgpr_read_b32 v34, a192                               // 00000000A820: D3D84022 180001C0
	v_accvgpr_read_b32 v35, a193                               // 00000000A828: D3D84023 180001C1
	v_mul_f32_e32 v34, s47, v34                                // 00000000A830: 0A44442F
	v_mul_f32_e32 v35, s47, v35                                // 00000000A834: 0A46462F
	v_cvt_pk_bf16_f32 v168, v34, v35                           // 00000000A838: D26800A8 00024722
	v_accvgpr_read_b32 v34, a194                               // 00000000A840: D3D84022 180001C2
	v_accvgpr_read_b32 v35, a195                               // 00000000A848: D3D84023 180001C3
	v_mul_f32_e32 v34, s47, v34                                // 00000000A850: 0A44442F
	v_mul_f32_e32 v35, s47, v35                                // 00000000A854: 0A46462F
	v_cvt_pk_bf16_f32 v169, v34, v35                           // 00000000A858: D26800A9 00024722
	v_accvgpr_read_b32 v34, a196                               // 00000000A860: D3D84022 180001C4
	v_accvgpr_read_b32 v35, a197                               // 00000000A868: D3D84023 180001C5
	v_mul_f32_e32 v34, s47, v34                                // 00000000A870: 0A44442F
	v_mul_f32_e32 v35, s47, v35                                // 00000000A874: 0A46462F
	v_cvt_pk_bf16_f32 v170, v34, v35                           // 00000000A878: D26800AA 00024722
	v_accvgpr_read_b32 v34, a198                               // 00000000A880: D3D84022 180001C6
	v_accvgpr_read_b32 v35, a199                               // 00000000A888: D3D84023 180001C7
	v_mul_f32_e32 v34, s47, v34                                // 00000000A890: 0A44442F
	v_mul_f32_e32 v35, s47, v35                                // 00000000A894: 0A46462F
	v_cvt_pk_bf16_f32 v171, v34, v35                           // 00000000A898: D26800AB 00024722
	v_accvgpr_read_b32 v34, a200                               // 00000000A8A0: D3D84022 180001C8
	v_accvgpr_read_b32 v35, a201                               // 00000000A8A8: D3D84023 180001C9
	v_mul_f32_e32 v34, s47, v34                                // 00000000A8B0: 0A44442F
	v_mul_f32_e32 v35, s47, v35                                // 00000000A8B4: 0A46462F
	v_cvt_pk_bf16_f32 v172, v34, v35                           // 00000000A8B8: D26800AC 00024722
	v_accvgpr_read_b32 v34, a202                               // 00000000A8C0: D3D84022 180001CA
	v_accvgpr_read_b32 v35, a203                               // 00000000A8C8: D3D84023 180001CB
	v_mul_f32_e32 v34, s47, v34                                // 00000000A8D0: 0A44442F
	v_mul_f32_e32 v35, s47, v35                                // 00000000A8D4: 0A46462F
	v_cvt_pk_bf16_f32 v173, v34, v35                           // 00000000A8D8: D26800AD 00024722
	v_accvgpr_read_b32 v34, a204                               // 00000000A8E0: D3D84022 180001CC
	v_accvgpr_read_b32 v35, a205                               // 00000000A8E8: D3D84023 180001CD
	v_mul_f32_e32 v34, s47, v34                                // 00000000A8F0: 0A44442F
	v_mul_f32_e32 v35, s47, v35                                // 00000000A8F4: 0A46462F
	v_cvt_pk_bf16_f32 v174, v34, v35                           // 00000000A8F8: D26800AE 00024722
	v_accvgpr_read_b32 v34, a206                               // 00000000A900: D3D84022 180001CE
	v_accvgpr_read_b32 v35, a207                               // 00000000A908: D3D84023 180001CF
	v_mul_f32_e32 v34, s47, v34                                // 00000000A910: 0A44442F
	v_mul_f32_e32 v35, s47, v35                                // 00000000A914: 0A46462F
	v_cvt_pk_bf16_f32 v175, v34, v35                           // 00000000A918: D26800AF 00024722
	ds_write_b64 v24, v[128:129]                               // 00000000A920: D89A0000 00008018
	ds_write_b64 v24, v[130:131] offset:544                    // 00000000A928: D89A0220 00008218
	ds_write_b64 v24, v[132:133] offset:1088                   // 00000000A930: D89A0440 00008418
	ds_write_b64 v24, v[134:135] offset:1632                   // 00000000A938: D89A0660 00008618
	ds_write_b64 v24, v[136:137] offset:2176                   // 00000000A940: D89A0880 00008818
	ds_write_b64 v24, v[138:139] offset:2720                   // 00000000A948: D89A0AA0 00008A18
	ds_write_b64 v24, v[140:141] offset:3264                   // 00000000A950: D89A0CC0 00008C18
	ds_write_b64 v24, v[142:143] offset:3808                   // 00000000A958: D89A0EE0 00008E18
	ds_write_b64 v24, v[144:145] offset:4352                   // 00000000A960: D89A1100 00009018
	ds_write_b64 v24, v[146:147] offset:4896                   // 00000000A968: D89A1320 00009218
	ds_write_b64 v24, v[148:149] offset:5440                   // 00000000A970: D89A1540 00009418
	ds_write_b64 v24, v[150:151] offset:5984                   // 00000000A978: D89A1760 00009618
	ds_write_b64 v24, v[152:153] offset:6528                   // 00000000A980: D89A1980 00009818
	ds_write_b64 v24, v[154:155] offset:7072                   // 00000000A988: D89A1BA0 00009A18
	ds_write_b64 v24, v[156:157] offset:7616                   // 00000000A990: D89A1DC0 00009C18
	ds_write_b64 v24, v[158:159] offset:8160                   // 00000000A998: D89A1FE0 00009E18
	ds_write_b64 v24, v[160:161] offset:8704                   // 00000000A9A0: D89A2200 0000A018
	ds_write_b64 v24, v[162:163] offset:9248                   // 00000000A9A8: D89A2420 0000A218
	ds_write_b64 v24, v[164:165] offset:9792                   // 00000000A9B0: D89A2640 0000A418
	ds_write_b64 v24, v[166:167] offset:10336                  // 00000000A9B8: D89A2860 0000A618
	ds_write_b64 v24, v[168:169] offset:10880                  // 00000000A9C0: D89A2A80 0000A818
	ds_write_b64 v24, v[170:171] offset:11424                  // 00000000A9C8: D89A2CA0 0000AA18
	ds_write_b64 v24, v[172:173] offset:11968                  // 00000000A9D0: D89A2EC0 0000AC18
	ds_write_b64 v24, v[174:175] offset:12512                  // 00000000A9D8: D89A30E0 0000AE18
	s_waitcnt lgkmcnt(0)                                       // 00000000A9E0: BF8CC07F
	s_barrier                                                  // 00000000A9E4: BF8A0000
	ds_read_b64 v[128:129], v22                                // 00000000A9E8: D8EC0000 80000016
	ds_read_b64 v[130:131], v22 offset:256                     // 00000000A9F0: D8EC0100 82000016
	ds_read_b64 v[132:133], v22 offset:4352                    // 00000000A9F8: D8EC1100 84000016
	ds_read_b64 v[134:135], v22 offset:4608                    // 00000000AA00: D8EC1200 86000016
	ds_read_b64 v[136:137], v22 offset:8704                    // 00000000AA08: D8EC2200 88000016
	ds_read_b64 v[138:139], v22 offset:8960                    // 00000000AA10: D8EC2300 8A000016
	ds_read_b64 v[140:141], v22 offset:64                      // 00000000AA18: D8EC0040 8C000016
	ds_read_b64 v[142:143], v22 offset:320                     // 00000000AA20: D8EC0140 8E000016
	ds_read_b64 v[144:145], v22 offset:4416                    // 00000000AA28: D8EC1140 90000016
	ds_read_b64 v[146:147], v22 offset:4672                    // 00000000AA30: D8EC1240 92000016
	ds_read_b64 v[148:149], v22 offset:8768                    // 00000000AA38: D8EC2240 94000016
	ds_read_b64 v[150:151], v22 offset:9024                    // 00000000AA40: D8EC2340 96000016
	ds_read_b64 v[152:153], v22 offset:128                     // 00000000AA48: D8EC0080 98000016
	ds_read_b64 v[154:155], v22 offset:384                     // 00000000AA50: D8EC0180 9A000016
	ds_read_b64 v[156:157], v22 offset:4480                    // 00000000AA58: D8EC1180 9C000016
	ds_read_b64 v[158:159], v22 offset:4736                    // 00000000AA60: D8EC1280 9E000016
	ds_read_b64 v[160:161], v22 offset:8832                    // 00000000AA68: D8EC2280 A0000016
	ds_read_b64 v[162:163], v22 offset:9088                    // 00000000AA70: D8EC2380 A2000016
	ds_read_b64 v[164:165], v22 offset:192                     // 00000000AA78: D8EC00C0 A4000016
	ds_read_b64 v[166:167], v22 offset:448                     // 00000000AA80: D8EC01C0 A6000016
	ds_read_b64 v[168:169], v22 offset:4544                    // 00000000AA88: D8EC11C0 A8000016
	ds_read_b64 v[170:171], v22 offset:4800                    // 00000000AA90: D8EC12C0 AA000016
	ds_read_b64 v[172:173], v22 offset:8896                    // 00000000AA98: D8EC22C0 AC000016
	ds_read_b64 v[174:175], v22 offset:9152                    // 00000000AAA0: D8EC23C0 AE000016
	s_waitcnt lgkmcnt(0)                                       // 00000000AAA8: BF8CC07F
	s_mov_b32 s70, s52                                         // 00000000AAAC: BEC60034
	buffer_store_dwordx4 v[128:131], v5, s[36:39], 0 offen     // 00000000AAB0: E07C1000 80098005
	buffer_store_dwordx4 v[132:135], v5, s[36:39], 0 offen offset:128// 00000000AAB8: E07C1080 80098405
	buffer_store_dwordx4 v[136:139], v5, s[36:39], 0 offen offset:256// 00000000AAC0: E07C1100 80098805
	s_mul_i32 s60, 8, s70                                      // 00000000AAC8: 923C4688
	v_add_u32_e32 v5, s60, v5                                  // 00000000AACC: 680A0A3C
	buffer_store_dwordx4 v[140:143], v5, s[36:39], 0 offen     // 00000000AAD0: E07C1000 80098C05
	buffer_store_dwordx4 v[144:147], v5, s[36:39], 0 offen offset:128// 00000000AAD8: E07C1080 80099005
	buffer_store_dwordx4 v[148:151], v5, s[36:39], 0 offen offset:256// 00000000AAE0: E07C1100 80099405
	s_mul_i32 s60, 8, s70                                      // 00000000AAE8: 923C4688
	v_add_u32_e32 v5, s60, v5                                  // 00000000AAEC: 680A0A3C
	s_mul_i32 s60, 48, s70                                     // 00000000AAF0: 923C46B0
	v_add_u32_e32 v5, s60, v5                                  // 00000000AAF4: 680A0A3C
	buffer_store_dwordx4 v[152:155], v5, s[36:39], 0 offen     // 00000000AAF8: E07C1000 80099805
	buffer_store_dwordx4 v[156:159], v5, s[36:39], 0 offen offset:128// 00000000AB00: E07C1080 80099C05
	buffer_store_dwordx4 v[160:163], v5, s[36:39], 0 offen offset:256// 00000000AB08: E07C1100 8009A005
	s_mul_i32 s60, 8, s70                                      // 00000000AB10: 923C4688
	v_add_u32_e32 v5, s60, v5                                  // 00000000AB14: 680A0A3C
	buffer_store_dwordx4 v[164:167], v5, s[36:39], 0 offen     // 00000000AB18: E07C1000 8009A405
	buffer_store_dwordx4 v[168:171], v5, s[36:39], 0 offen offset:128// 00000000AB20: E07C1080 8009A805
	buffer_store_dwordx4 v[172:175], v5, s[36:39], 0 offen offset:256// 00000000AB28: E07C1100 8009AC05
	s_mul_i32 s60, 8, s70                                      // 00000000AB30: 923C4688
	v_add_u32_e32 v5, s60, v5                                  // 00000000AB34: 680A0A3C
	s_mul_i32 s60, 48, s70                                     // 00000000AB38: 923C46B0
	v_add_u32_e32 v5, s60, v5                                  // 00000000AB3C: 680A0A3C
	s_cmp_ge_i32 2, s72                                        // 00000000AB40: BF034882
	s_cbranch_scc1 label_1BF4                                  // 00000000AB44: BF850104
	v_accvgpr_read_b32 v34, a208                               // 00000000AB48: D3D84022 180001D0
	v_accvgpr_read_b32 v35, a209                               // 00000000AB50: D3D84023 180001D1
	v_mul_f32_e32 v34, s47, v34                                // 00000000AB58: 0A44442F
	v_mul_f32_e32 v35, s47, v35                                // 00000000AB5C: 0A46462F
	v_cvt_pk_bf16_f32 v176, v34, v35                           // 00000000AB60: D26800B0 00024722
	v_accvgpr_read_b32 v34, a210                               // 00000000AB68: D3D84022 180001D2
	v_accvgpr_read_b32 v35, a211                               // 00000000AB70: D3D84023 180001D3
	v_mul_f32_e32 v34, s47, v34                                // 00000000AB78: 0A44442F
	v_mul_f32_e32 v35, s47, v35                                // 00000000AB7C: 0A46462F
	v_cvt_pk_bf16_f32 v177, v34, v35                           // 00000000AB80: D26800B1 00024722
	v_accvgpr_read_b32 v34, a212                               // 00000000AB88: D3D84022 180001D4
	v_accvgpr_read_b32 v35, a213                               // 00000000AB90: D3D84023 180001D5
	v_mul_f32_e32 v34, s47, v34                                // 00000000AB98: 0A44442F
	v_mul_f32_e32 v35, s47, v35                                // 00000000AB9C: 0A46462F
	v_cvt_pk_bf16_f32 v178, v34, v35                           // 00000000ABA0: D26800B2 00024722
	v_accvgpr_read_b32 v34, a214                               // 00000000ABA8: D3D84022 180001D6
	v_accvgpr_read_b32 v35, a215                               // 00000000ABB0: D3D84023 180001D7
	v_mul_f32_e32 v34, s47, v34                                // 00000000ABB8: 0A44442F
	v_mul_f32_e32 v35, s47, v35                                // 00000000ABBC: 0A46462F
	v_cvt_pk_bf16_f32 v179, v34, v35                           // 00000000ABC0: D26800B3 00024722
	v_accvgpr_read_b32 v34, a216                               // 00000000ABC8: D3D84022 180001D8
	v_accvgpr_read_b32 v35, a217                               // 00000000ABD0: D3D84023 180001D9
	v_mul_f32_e32 v34, s47, v34                                // 00000000ABD8: 0A44442F
	v_mul_f32_e32 v35, s47, v35                                // 00000000ABDC: 0A46462F
	v_cvt_pk_bf16_f32 v180, v34, v35                           // 00000000ABE0: D26800B4 00024722
	v_accvgpr_read_b32 v34, a218                               // 00000000ABE8: D3D84022 180001DA
	v_accvgpr_read_b32 v35, a219                               // 00000000ABF0: D3D84023 180001DB
	v_mul_f32_e32 v34, s47, v34                                // 00000000ABF8: 0A44442F
	v_mul_f32_e32 v35, s47, v35                                // 00000000ABFC: 0A46462F
	v_cvt_pk_bf16_f32 v181, v34, v35                           // 00000000AC00: D26800B5 00024722
	v_accvgpr_read_b32 v34, a220                               // 00000000AC08: D3D84022 180001DC
	v_accvgpr_read_b32 v35, a221                               // 00000000AC10: D3D84023 180001DD
	v_mul_f32_e32 v34, s47, v34                                // 00000000AC18: 0A44442F
	v_mul_f32_e32 v35, s47, v35                                // 00000000AC1C: 0A46462F
	v_cvt_pk_bf16_f32 v182, v34, v35                           // 00000000AC20: D26800B6 00024722
	v_accvgpr_read_b32 v34, a222                               // 00000000AC28: D3D84022 180001DE
	v_accvgpr_read_b32 v35, a223                               // 00000000AC30: D3D84023 180001DF
	v_mul_f32_e32 v34, s47, v34                                // 00000000AC38: 0A44442F
	v_mul_f32_e32 v35, s47, v35                                // 00000000AC3C: 0A46462F
	v_cvt_pk_bf16_f32 v183, v34, v35                           // 00000000AC40: D26800B7 00024722
	v_accvgpr_read_b32 v34, a224                               // 00000000AC48: D3D84022 180001E0
	v_accvgpr_read_b32 v35, a225                               // 00000000AC50: D3D84023 180001E1
	v_mul_f32_e32 v34, s47, v34                                // 00000000AC58: 0A44442F
	v_mul_f32_e32 v35, s47, v35                                // 00000000AC5C: 0A46462F
	v_cvt_pk_bf16_f32 v184, v34, v35                           // 00000000AC60: D26800B8 00024722
	v_accvgpr_read_b32 v34, a226                               // 00000000AC68: D3D84022 180001E2
	v_accvgpr_read_b32 v35, a227                               // 00000000AC70: D3D84023 180001E3
	v_mul_f32_e32 v34, s47, v34                                // 00000000AC78: 0A44442F
	v_mul_f32_e32 v35, s47, v35                                // 00000000AC7C: 0A46462F
	v_cvt_pk_bf16_f32 v185, v34, v35                           // 00000000AC80: D26800B9 00024722
	v_accvgpr_read_b32 v34, a228                               // 00000000AC88: D3D84022 180001E4
	v_accvgpr_read_b32 v35, a229                               // 00000000AC90: D3D84023 180001E5
	v_mul_f32_e32 v34, s47, v34                                // 00000000AC98: 0A44442F
	v_mul_f32_e32 v35, s47, v35                                // 00000000AC9C: 0A46462F
	v_cvt_pk_bf16_f32 v186, v34, v35                           // 00000000ACA0: D26800BA 00024722
	v_accvgpr_read_b32 v34, a230                               // 00000000ACA8: D3D84022 180001E6
	v_accvgpr_read_b32 v35, a231                               // 00000000ACB0: D3D84023 180001E7
	v_mul_f32_e32 v34, s47, v34                                // 00000000ACB8: 0A44442F
	v_mul_f32_e32 v35, s47, v35                                // 00000000ACBC: 0A46462F
	v_cvt_pk_bf16_f32 v187, v34, v35                           // 00000000ACC0: D26800BB 00024722
	v_accvgpr_read_b32 v34, a232                               // 00000000ACC8: D3D84022 180001E8
	v_accvgpr_read_b32 v35, a233                               // 00000000ACD0: D3D84023 180001E9
	v_mul_f32_e32 v34, s47, v34                                // 00000000ACD8: 0A44442F
	v_mul_f32_e32 v35, s47, v35                                // 00000000ACDC: 0A46462F
	v_cvt_pk_bf16_f32 v188, v34, v35                           // 00000000ACE0: D26800BC 00024722
	v_accvgpr_read_b32 v34, a234                               // 00000000ACE8: D3D84022 180001EA
	v_accvgpr_read_b32 v35, a235                               // 00000000ACF0: D3D84023 180001EB
	v_mul_f32_e32 v34, s47, v34                                // 00000000ACF8: 0A44442F
	v_mul_f32_e32 v35, s47, v35                                // 00000000ACFC: 0A46462F
	v_cvt_pk_bf16_f32 v189, v34, v35                           // 00000000AD00: D26800BD 00024722
	v_accvgpr_read_b32 v34, a236                               // 00000000AD08: D3D84022 180001EC
	v_accvgpr_read_b32 v35, a237                               // 00000000AD10: D3D84023 180001ED
	v_mul_f32_e32 v34, s47, v34                                // 00000000AD18: 0A44442F
	v_mul_f32_e32 v35, s47, v35                                // 00000000AD1C: 0A46462F
	v_cvt_pk_bf16_f32 v190, v34, v35                           // 00000000AD20: D26800BE 00024722
	v_accvgpr_read_b32 v34, a238                               // 00000000AD28: D3D84022 180001EE
	v_accvgpr_read_b32 v35, a239                               // 00000000AD30: D3D84023 180001EF
	v_mul_f32_e32 v34, s47, v34                                // 00000000AD38: 0A44442F
	v_mul_f32_e32 v35, s47, v35                                // 00000000AD3C: 0A46462F
	v_cvt_pk_bf16_f32 v191, v34, v35                           // 00000000AD40: D26800BF 00024722
	v_accvgpr_read_b32 v34, a240                               // 00000000AD48: D3D84022 180001F0
	v_accvgpr_read_b32 v35, a241                               // 00000000AD50: D3D84023 180001F1
	v_mul_f32_e32 v34, s47, v34                                // 00000000AD58: 0A44442F
	v_mul_f32_e32 v35, s47, v35                                // 00000000AD5C: 0A46462F
	v_cvt_pk_bf16_f32 v192, v34, v35                           // 00000000AD60: D26800C0 00024722
	v_accvgpr_read_b32 v34, a242                               // 00000000AD68: D3D84022 180001F2
	v_accvgpr_read_b32 v35, a243                               // 00000000AD70: D3D84023 180001F3
	v_mul_f32_e32 v34, s47, v34                                // 00000000AD78: 0A44442F
	v_mul_f32_e32 v35, s47, v35                                // 00000000AD7C: 0A46462F
	v_cvt_pk_bf16_f32 v193, v34, v35                           // 00000000AD80: D26800C1 00024722
	v_accvgpr_read_b32 v34, a244                               // 00000000AD88: D3D84022 180001F4
	v_accvgpr_read_b32 v35, a245                               // 00000000AD90: D3D84023 180001F5
	v_mul_f32_e32 v34, s47, v34                                // 00000000AD98: 0A44442F
	v_mul_f32_e32 v35, s47, v35                                // 00000000AD9C: 0A46462F
	v_cvt_pk_bf16_f32 v194, v34, v35                           // 00000000ADA0: D26800C2 00024722
	v_accvgpr_read_b32 v34, a246                               // 00000000ADA8: D3D84022 180001F6
	v_accvgpr_read_b32 v35, a247                               // 00000000ADB0: D3D84023 180001F7
	v_mul_f32_e32 v34, s47, v34                                // 00000000ADB8: 0A44442F
	v_mul_f32_e32 v35, s47, v35                                // 00000000ADBC: 0A46462F
	v_cvt_pk_bf16_f32 v195, v34, v35                           // 00000000ADC0: D26800C3 00024722
	v_accvgpr_read_b32 v34, a248                               // 00000000ADC8: D3D84022 180001F8
	v_accvgpr_read_b32 v35, a249                               // 00000000ADD0: D3D84023 180001F9
	v_mul_f32_e32 v34, s47, v34                                // 00000000ADD8: 0A44442F
	v_mul_f32_e32 v35, s47, v35                                // 00000000ADDC: 0A46462F
	v_cvt_pk_bf16_f32 v196, v34, v35                           // 00000000ADE0: D26800C4 00024722
	v_accvgpr_read_b32 v34, a250                               // 00000000ADE8: D3D84022 180001FA
	v_accvgpr_read_b32 v35, a251                               // 00000000ADF0: D3D84023 180001FB
	v_mul_f32_e32 v34, s47, v34                                // 00000000ADF8: 0A44442F
	v_mul_f32_e32 v35, s47, v35                                // 00000000ADFC: 0A46462F
	v_cvt_pk_bf16_f32 v197, v34, v35                           // 00000000AE00: D26800C5 00024722
	v_accvgpr_read_b32 v34, a252                               // 00000000AE08: D3D84022 180001FC
	v_accvgpr_read_b32 v35, a253                               // 00000000AE10: D3D84023 180001FD
	v_mul_f32_e32 v34, s47, v34                                // 00000000AE18: 0A44442F
	v_mul_f32_e32 v35, s47, v35                                // 00000000AE1C: 0A46462F
	v_cvt_pk_bf16_f32 v198, v34, v35                           // 00000000AE20: D26800C6 00024722
	v_accvgpr_read_b32 v34, a254                               // 00000000AE28: D3D84022 180001FE
	v_accvgpr_read_b32 v35, a255                               // 00000000AE30: D3D84023 180001FF
	v_mul_f32_e32 v34, s47, v34                                // 00000000AE38: 0A44442F
	v_mul_f32_e32 v35, s47, v35                                // 00000000AE3C: 0A46462F
	v_cvt_pk_bf16_f32 v199, v34, v35                           // 00000000AE40: D26800C7 00024722
	ds_write_b64 v25, v[176:177] offset:52224                  // 00000000AE48: D89ACC00 0000B019
	ds_write_b64 v25, v[178:179] offset:52800                  // 00000000AE50: D89ACE40 0000B219
	ds_write_b64 v25, v[180:181] offset:53376                  // 00000000AE58: D89AD080 0000B419
	ds_write_b64 v25, v[182:183] offset:53952                  // 00000000AE60: D89AD2C0 0000B619
	ds_write_b64 v25, v[184:185] offset:54528                  // 00000000AE68: D89AD500 0000B819
	ds_write_b64 v25, v[186:187] offset:55104                  // 00000000AE70: D89AD740 0000BA19
	ds_write_b64 v25, v[188:189] offset:55680                  // 00000000AE78: D89AD980 0000BC19
	ds_write_b64 v25, v[190:191] offset:56256                  // 00000000AE80: D89ADBC0 0000BE19
	ds_write_b64 v25, v[192:193] offset:56832                  // 00000000AE88: D89ADE00 0000C019
	ds_write_b64 v25, v[194:195] offset:57408                  // 00000000AE90: D89AE040 0000C219
	ds_write_b64 v25, v[196:197] offset:57984                  // 00000000AE98: D89AE280 0000C419
	ds_write_b64 v25, v[198:199] offset:58560                  // 00000000AEA0: D89AE4C0 0000C619
	s_waitcnt lgkmcnt(0)                                       // 00000000AEA8: BF8CC07F
	s_barrier                                                  // 00000000AEAC: BF8A0000
	ds_read_b64 v[176:177], v23 offset:52224                   // 00000000AEB0: D8ECCC00 B0000017
	ds_read_b64 v[178:179], v23 offset:52352                   // 00000000AEB8: D8ECCC80 B2000017
	ds_read_b64 v[180:181], v23 offset:54528                   // 00000000AEC0: D8ECD500 B4000017
	ds_read_b64 v[182:183], v23 offset:54656                   // 00000000AEC8: D8ECD580 B6000017
	ds_read_b64 v[184:185], v23 offset:56832                   // 00000000AED0: D8ECDE00 B8000017
	ds_read_b64 v[186:187], v23 offset:56960                   // 00000000AED8: D8ECDE80 BA000017
	ds_read_b64 v[188:189], v23 offset:52288                   // 00000000AEE0: D8ECCC40 BC000017
	ds_read_b64 v[190:191], v23 offset:52416                   // 00000000AEE8: D8ECCCC0 BE000017
	ds_read_b64 v[192:193], v23 offset:54592                   // 00000000AEF0: D8ECD540 C0000017
	ds_read_b64 v[194:195], v23 offset:54720                   // 00000000AEF8: D8ECD5C0 C2000017
	ds_read_b64 v[196:197], v23 offset:56896                   // 00000000AF00: D8ECDE40 C4000017
	ds_read_b64 v[198:199], v23 offset:57024                   // 00000000AF08: D8ECDEC0 C6000017
	s_waitcnt lgkmcnt(0)                                       // 00000000AF10: BF8CC07F
	s_mov_b32 s70, s52                                         // 00000000AF14: BEC60034
	buffer_store_dwordx4 v[176:179], v5, s[36:39], 0 offen     // 00000000AF18: E07C1000 8009B005
	buffer_store_dwordx4 v[180:183], v5, s[36:39], 0 offen offset:128// 00000000AF20: E07C1080 8009B405
	buffer_store_dwordx4 v[184:187], v5, s[36:39], 0 offen offset:256// 00000000AF28: E07C1100 8009B805
	s_mul_i32 s60, 8, s70                                      // 00000000AF30: 923C4688
	v_add_u32_e32 v5, s60, v5                                  // 00000000AF34: 680A0A3C
	buffer_store_dwordx4 v[188:191], v5, s[36:39], 0 offen     // 00000000AF38: E07C1000 8009BC05
	buffer_store_dwordx4 v[192:195], v5, s[36:39], 0 offen offset:128// 00000000AF40: E07C1080 8009C005
	buffer_store_dwordx4 v[196:199], v5, s[36:39], 0 offen offset:256// 00000000AF48: E07C1100 8009C405
	s_mul_i32 s60, 8, s70                                      // 00000000AF50: 923C4688
	v_add_u32_e32 v5, s60, v5                                  // 00000000AF54: 680A0A3C

000000000000af58 <label_1BF4>:
	s_waitcnt vmcnt(0) expcnt(0) lgkmcnt(0)                    // 00000000AF58: BF8C0000
	s_sub_i32 s60, s77, 1                                      // 00000000AF5C: 81BC814D
	s_sub_i32 s2, s60, s2                                      // 00000000AF60: 8182023C
	s_addk_i32 s75, 0x1                                        // 00000000AF64: B74B0001
	s_cmp_lt_i32 s75, s76                                      // 00000000AF68: BF044C4B
	s_cbranch_scc1 label_0160                                  // 00000000AF6C: BF85E584
	s_waitcnt vmcnt(0) expcnt(0) lgkmcnt(0)                    // 00000000AF70: BF8C0000
	s_endpgm                                                   // 00000000AF74: BF810000
